;; amdgpu-corpus repo=ROCm/rocFFT kind=compiled arch=gfx906 opt=O3
	.text
	.amdgcn_target "amdgcn-amd-amdhsa--gfx906"
	.amdhsa_code_object_version 6
	.protected	fft_rtc_fwd_len3200_factors_10_10_4_4_2_wgs_160_tpt_160_halfLds_dp_op_CI_CI_unitstride_sbrr_dirReg ; -- Begin function fft_rtc_fwd_len3200_factors_10_10_4_4_2_wgs_160_tpt_160_halfLds_dp_op_CI_CI_unitstride_sbrr_dirReg
	.globl	fft_rtc_fwd_len3200_factors_10_10_4_4_2_wgs_160_tpt_160_halfLds_dp_op_CI_CI_unitstride_sbrr_dirReg
	.p2align	8
	.type	fft_rtc_fwd_len3200_factors_10_10_4_4_2_wgs_160_tpt_160_halfLds_dp_op_CI_CI_unitstride_sbrr_dirReg,@function
fft_rtc_fwd_len3200_factors_10_10_4_4_2_wgs_160_tpt_160_halfLds_dp_op_CI_CI_unitstride_sbrr_dirReg: ; @fft_rtc_fwd_len3200_factors_10_10_4_4_2_wgs_160_tpt_160_halfLds_dp_op_CI_CI_unitstride_sbrr_dirReg
; %bb.0:
	s_load_dwordx4 s[8:11], s[4:5], 0x58
	s_load_dwordx4 s[12:15], s[4:5], 0x0
	;; [unrolled: 1-line block ×3, first 2 shown]
	v_mul_u32_u24_e32 v1, 0x19a, v0
	v_add_u32_sdwa v6, s6, v1 dst_sel:DWORD dst_unused:UNUSED_PAD src0_sel:DWORD src1_sel:WORD_1
	v_mov_b32_e32 v1, 0
	s_waitcnt lgkmcnt(0)
	v_cmp_lt_u64_e64 s[0:1], s[14:15], 2
	v_mov_b32_e32 v4, 0
	v_mov_b32_e32 v7, v1
	s_and_b64 vcc, exec, s[0:1]
	v_mov_b32_e32 v5, 0
	s_cbranch_vccnz .LBB0_8
; %bb.1:
	s_load_dwordx2 s[0:1], s[4:5], 0x10
	s_add_u32 s2, s18, 8
	s_addc_u32 s3, s19, 0
	s_add_u32 s6, s16, 8
	v_mov_b32_e32 v4, 0
	s_addc_u32 s7, s17, 0
	v_mov_b32_e32 v5, 0
	s_waitcnt lgkmcnt(0)
	s_add_u32 s20, s0, 8
	v_mov_b32_e32 v81, v5
	s_addc_u32 s21, s1, 0
	s_mov_b64 s[22:23], 1
	v_mov_b32_e32 v80, v4
.LBB0_2:                                ; =>This Inner Loop Header: Depth=1
	s_load_dwordx2 s[24:25], s[20:21], 0x0
                                        ; implicit-def: $vgpr84_vgpr85
	s_waitcnt lgkmcnt(0)
	v_or_b32_e32 v2, s25, v7
	v_cmp_ne_u64_e32 vcc, 0, v[1:2]
	s_and_saveexec_b64 s[0:1], vcc
	s_xor_b64 s[26:27], exec, s[0:1]
	s_cbranch_execz .LBB0_4
; %bb.3:                                ;   in Loop: Header=BB0_2 Depth=1
	v_cvt_f32_u32_e32 v2, s24
	v_cvt_f32_u32_e32 v3, s25
	s_sub_u32 s0, 0, s24
	s_subb_u32 s1, 0, s25
	v_mac_f32_e32 v2, 0x4f800000, v3
	v_rcp_f32_e32 v2, v2
	v_mul_f32_e32 v2, 0x5f7ffffc, v2
	v_mul_f32_e32 v3, 0x2f800000, v2
	v_trunc_f32_e32 v3, v3
	v_mac_f32_e32 v2, 0xcf800000, v3
	v_cvt_u32_f32_e32 v3, v3
	v_cvt_u32_f32_e32 v2, v2
	v_mul_lo_u32 v8, s0, v3
	v_mul_hi_u32 v9, s0, v2
	v_mul_lo_u32 v11, s1, v2
	v_mul_lo_u32 v10, s0, v2
	v_add_u32_e32 v8, v9, v8
	v_add_u32_e32 v8, v8, v11
	v_mul_hi_u32 v9, v2, v10
	v_mul_lo_u32 v11, v2, v8
	v_mul_hi_u32 v13, v2, v8
	v_mul_hi_u32 v12, v3, v10
	v_mul_lo_u32 v10, v3, v10
	v_mul_hi_u32 v14, v3, v8
	v_add_co_u32_e32 v9, vcc, v9, v11
	v_addc_co_u32_e32 v11, vcc, 0, v13, vcc
	v_mul_lo_u32 v8, v3, v8
	v_add_co_u32_e32 v9, vcc, v9, v10
	v_addc_co_u32_e32 v9, vcc, v11, v12, vcc
	v_addc_co_u32_e32 v10, vcc, 0, v14, vcc
	v_add_co_u32_e32 v8, vcc, v9, v8
	v_addc_co_u32_e32 v9, vcc, 0, v10, vcc
	v_add_co_u32_e32 v2, vcc, v2, v8
	v_addc_co_u32_e32 v3, vcc, v3, v9, vcc
	v_mul_lo_u32 v8, s0, v3
	v_mul_hi_u32 v9, s0, v2
	v_mul_lo_u32 v10, s1, v2
	v_mul_lo_u32 v11, s0, v2
	v_add_u32_e32 v8, v9, v8
	v_add_u32_e32 v8, v8, v10
	v_mul_lo_u32 v12, v2, v8
	v_mul_hi_u32 v13, v2, v11
	v_mul_hi_u32 v14, v2, v8
	v_mul_hi_u32 v10, v3, v11
	v_mul_lo_u32 v11, v3, v11
	v_mul_hi_u32 v9, v3, v8
	v_add_co_u32_e32 v12, vcc, v13, v12
	v_addc_co_u32_e32 v13, vcc, 0, v14, vcc
	v_mul_lo_u32 v8, v3, v8
	v_add_co_u32_e32 v11, vcc, v12, v11
	v_addc_co_u32_e32 v10, vcc, v13, v10, vcc
	v_addc_co_u32_e32 v9, vcc, 0, v9, vcc
	v_add_co_u32_e32 v8, vcc, v10, v8
	v_addc_co_u32_e32 v9, vcc, 0, v9, vcc
	v_add_co_u32_e32 v8, vcc, v2, v8
	v_addc_co_u32_e32 v9, vcc, v3, v9, vcc
	v_mad_u64_u32 v[2:3], s[0:1], v6, v9, 0
	v_mul_hi_u32 v10, v6, v8
	v_add_co_u32_e32 v10, vcc, v10, v2
	v_addc_co_u32_e32 v11, vcc, 0, v3, vcc
	v_mad_u64_u32 v[2:3], s[0:1], v7, v8, 0
	v_mad_u64_u32 v[8:9], s[0:1], v7, v9, 0
	v_add_co_u32_e32 v2, vcc, v10, v2
	v_addc_co_u32_e32 v2, vcc, v11, v3, vcc
	v_addc_co_u32_e32 v3, vcc, 0, v9, vcc
	v_add_co_u32_e32 v8, vcc, v2, v8
	v_addc_co_u32_e32 v9, vcc, 0, v3, vcc
	v_mul_lo_u32 v10, s25, v8
	v_mul_lo_u32 v11, s24, v9
	v_mad_u64_u32 v[2:3], s[0:1], s24, v8, 0
	v_add3_u32 v3, v3, v11, v10
	v_sub_u32_e32 v10, v7, v3
	v_mov_b32_e32 v11, s25
	v_sub_co_u32_e32 v2, vcc, v6, v2
	v_subb_co_u32_e64 v10, s[0:1], v10, v11, vcc
	v_subrev_co_u32_e64 v11, s[0:1], s24, v2
	v_subbrev_co_u32_e64 v10, s[0:1], 0, v10, s[0:1]
	v_cmp_le_u32_e64 s[0:1], s25, v10
	v_cndmask_b32_e64 v12, 0, -1, s[0:1]
	v_cmp_le_u32_e64 s[0:1], s24, v11
	v_cndmask_b32_e64 v11, 0, -1, s[0:1]
	v_cmp_eq_u32_e64 s[0:1], s25, v10
	v_cndmask_b32_e64 v10, v12, v11, s[0:1]
	v_add_co_u32_e64 v11, s[0:1], 2, v8
	v_addc_co_u32_e64 v12, s[0:1], 0, v9, s[0:1]
	v_add_co_u32_e64 v13, s[0:1], 1, v8
	v_addc_co_u32_e64 v14, s[0:1], 0, v9, s[0:1]
	v_subb_co_u32_e32 v3, vcc, v7, v3, vcc
	v_cmp_ne_u32_e64 s[0:1], 0, v10
	v_cmp_le_u32_e32 vcc, s25, v3
	v_cndmask_b32_e64 v10, v14, v12, s[0:1]
	v_cndmask_b32_e64 v12, 0, -1, vcc
	v_cmp_le_u32_e32 vcc, s24, v2
	v_cndmask_b32_e64 v2, 0, -1, vcc
	v_cmp_eq_u32_e32 vcc, s25, v3
	v_cndmask_b32_e32 v2, v12, v2, vcc
	v_cmp_ne_u32_e32 vcc, 0, v2
	v_cndmask_b32_e64 v2, v13, v11, s[0:1]
	v_cndmask_b32_e32 v85, v9, v10, vcc
	v_cndmask_b32_e32 v84, v8, v2, vcc
.LBB0_4:                                ;   in Loop: Header=BB0_2 Depth=1
	s_andn2_saveexec_b64 s[0:1], s[26:27]
	s_cbranch_execz .LBB0_6
; %bb.5:                                ;   in Loop: Header=BB0_2 Depth=1
	v_cvt_f32_u32_e32 v2, s24
	s_sub_i32 s26, 0, s24
	v_mov_b32_e32 v85, v1
	v_rcp_iflag_f32_e32 v2, v2
	v_mul_f32_e32 v2, 0x4f7ffffe, v2
	v_cvt_u32_f32_e32 v2, v2
	v_mul_lo_u32 v3, s26, v2
	v_mul_hi_u32 v3, v2, v3
	v_add_u32_e32 v2, v2, v3
	v_mul_hi_u32 v2, v6, v2
	v_mul_lo_u32 v3, v2, s24
	v_add_u32_e32 v8, 1, v2
	v_sub_u32_e32 v3, v6, v3
	v_subrev_u32_e32 v9, s24, v3
	v_cmp_le_u32_e32 vcc, s24, v3
	v_cndmask_b32_e32 v3, v3, v9, vcc
	v_cndmask_b32_e32 v2, v2, v8, vcc
	v_add_u32_e32 v8, 1, v2
	v_cmp_le_u32_e32 vcc, s24, v3
	v_cndmask_b32_e32 v84, v2, v8, vcc
.LBB0_6:                                ;   in Loop: Header=BB0_2 Depth=1
	s_or_b64 exec, exec, s[0:1]
	v_mul_lo_u32 v8, v85, s24
	v_mul_lo_u32 v9, v84, s25
	v_mad_u64_u32 v[2:3], s[0:1], v84, s24, 0
	s_load_dwordx2 s[0:1], s[6:7], 0x0
	s_load_dwordx2 s[24:25], s[2:3], 0x0
	v_add3_u32 v3, v3, v9, v8
	v_sub_co_u32_e32 v2, vcc, v6, v2
	v_subb_co_u32_e32 v3, vcc, v7, v3, vcc
	s_waitcnt lgkmcnt(0)
	v_mul_lo_u32 v6, s0, v3
	v_mul_lo_u32 v7, s1, v2
	v_mad_u64_u32 v[4:5], s[0:1], s0, v2, v[4:5]
	v_mul_lo_u32 v3, s24, v3
	v_mul_lo_u32 v8, s25, v2
	v_mad_u64_u32 v[80:81], s[0:1], s24, v2, v[80:81]
	s_add_u32 s22, s22, 1
	s_addc_u32 s23, s23, 0
	s_add_u32 s2, s2, 8
	v_add3_u32 v81, v8, v81, v3
	s_addc_u32 s3, s3, 0
	v_mov_b32_e32 v2, s14
	s_add_u32 s6, s6, 8
	v_mov_b32_e32 v3, s15
	s_addc_u32 s7, s7, 0
	v_cmp_ge_u64_e32 vcc, s[22:23], v[2:3]
	s_add_u32 s20, s20, 8
	v_add3_u32 v5, v7, v5, v6
	s_addc_u32 s21, s21, 0
	s_cbranch_vccnz .LBB0_9
; %bb.7:                                ;   in Loop: Header=BB0_2 Depth=1
	v_mov_b32_e32 v6, v84
	v_mov_b32_e32 v7, v85
	s_branch .LBB0_2
.LBB0_8:
	v_mov_b32_e32 v81, v5
	v_mov_b32_e32 v85, v7
	;; [unrolled: 1-line block ×4, first 2 shown]
.LBB0_9:
	s_load_dwordx2 s[0:1], s[4:5], 0x28
	s_lshl_b64 s[6:7], s[14:15], 3
	s_add_u32 s2, s18, s6
	s_addc_u32 s3, s19, s7
                                        ; implicit-def: $vgpr82
                                        ; implicit-def: $vgpr86
	s_waitcnt lgkmcnt(0)
	v_cmp_gt_u64_e32 vcc, s[0:1], v[84:85]
	v_cmp_le_u64_e64 s[0:1], s[0:1], v[84:85]
	s_and_saveexec_b64 s[4:5], s[0:1]
	s_xor_b64 s[0:1], exec, s[4:5]
; %bb.10:
	s_mov_b32 s4, 0x199999a
	v_mul_hi_u32 v1, v0, s4
                                        ; implicit-def: $vgpr4_vgpr5
	v_mul_u32_u24_e32 v1, 0xa0, v1
	v_sub_u32_e32 v82, v0, v1
	v_or_b32_e32 v86, 0x500, v82
                                        ; implicit-def: $vgpr0
; %bb.11:
	s_or_saveexec_b64 s[4:5], s[0:1]
                                        ; implicit-def: $vgpr50_vgpr51
                                        ; implicit-def: $vgpr54_vgpr55
                                        ; implicit-def: $vgpr66_vgpr67
                                        ; implicit-def: $vgpr74_vgpr75
                                        ; implicit-def: $vgpr62_vgpr63
                                        ; implicit-def: $vgpr6_vgpr7
                                        ; implicit-def: $vgpr14_vgpr15
                                        ; implicit-def: $vgpr30_vgpr31
                                        ; implicit-def: $vgpr18_vgpr19
                                        ; implicit-def: $vgpr38_vgpr39
                                        ; implicit-def: $vgpr26_vgpr27
                                        ; implicit-def: $vgpr34_vgpr35
                                        ; implicit-def: $vgpr22_vgpr23
                                        ; implicit-def: $vgpr10_vgpr11
                                        ; implicit-def: $vgpr2_vgpr3
                                        ; implicit-def: $vgpr78_vgpr79
                                        ; implicit-def: $vgpr70_vgpr71
                                        ; implicit-def: $vgpr46_vgpr47
                                        ; implicit-def: $vgpr42_vgpr43
                                        ; implicit-def: $vgpr58_vgpr59
	s_xor_b64 exec, exec, s[4:5]
	s_cbranch_execz .LBB0_13
; %bb.12:
	s_add_u32 s0, s16, s6
	s_addc_u32 s1, s17, s7
	s_load_dwordx2 s[0:1], s[0:1], 0x0
	s_mov_b32 s6, 0x199999a
	v_mul_hi_u32 v3, v0, s6
	s_mov_b32 s6, 0xa000
	s_waitcnt lgkmcnt(0)
	v_mul_lo_u32 v6, s1, v84
	v_mul_lo_u32 v7, s0, v85
	v_mad_u64_u32 v[1:2], s[0:1], s0, v84, 0
	v_mul_u32_u24_e32 v3, 0xa0, v3
	v_sub_u32_e32 v82, v0, v3
	v_add3_u32 v2, v2, v7, v6
	v_lshlrev_b64 v[0:1], 4, v[1:2]
	v_mov_b32_e32 v2, s9
	v_add_co_u32_e64 v3, s[0:1], s8, v0
	v_addc_co_u32_e64 v2, s[0:1], v2, v1, s[0:1]
	v_lshlrev_b64 v[0:1], 4, v[4:5]
	v_lshlrev_b32_e32 v4, 4, v82
	v_add_co_u32_e64 v3, s[0:1], v3, v0
	v_addc_co_u32_e64 v2, s[0:1], v2, v1, s[0:1]
	v_add_co_u32_e64 v12, s[0:1], v3, v4
	v_addc_co_u32_e64 v13, s[0:1], 0, v2, s[0:1]
	s_movk_i32 s0, 0x1000
	v_add_co_u32_e64 v14, s[0:1], s0, v12
	v_addc_co_u32_e64 v15, s[0:1], 0, v13, s[0:1]
	s_movk_i32 s0, 0x2000
	;; [unrolled: 3-line block ×3, first 2 shown]
	v_add_co_u32_e64 v18, s[0:1], s0, v12
	v_or_b32_e32 v86, 0x500, v82
	v_addc_co_u32_e64 v19, s[0:1], 0, v13, s[0:1]
	v_lshlrev_b32_e32 v0, 4, v86
	v_add_co_u32_e64 v0, s[0:1], v3, v0
	v_addc_co_u32_e64 v1, s[0:1], 0, v2, s[0:1]
	s_movk_i32 s0, 0x6000
	v_add_co_u32_e64 v87, s[0:1], s0, v12
	v_addc_co_u32_e64 v88, s[0:1], 0, v13, s[0:1]
	s_movk_i32 s0, 0x7000
	v_add_co_u32_e64 v89, s[0:1], s0, v12
	v_addc_co_u32_e64 v90, s[0:1], 0, v13, s[0:1]
	s_mov_b32 s0, 0x8000
	v_add_co_u32_e64 v91, s[0:1], s0, v12
	global_load_dwordx4 v[40:43], v[18:19], off offset:3072
	global_load_dwordx4 v[44:47], v[0:1], off
	v_addc_co_u32_e64 v92, s[0:1], 0, v13, s[0:1]
	v_or_b32_e32 v0, 0xa000, v4
	v_add_co_u32_e64 v93, s[0:1], v3, v0
	v_addc_co_u32_e64 v94, s[0:1], 0, v2, s[0:1]
	s_mov_b32 s0, 0xb000
	v_add_co_u32_e64 v95, s[0:1], s0, v12
	v_addc_co_u32_e64 v96, s[0:1], 0, v13, s[0:1]
	s_movk_i32 s0, 0x4000
	v_add_co_u32_e64 v97, s[0:1], s0, v12
	v_addc_co_u32_e64 v98, s[0:1], 0, v13, s[0:1]
	s_movk_i32 s0, 0x5000
	v_add_co_u32_e64 v99, s[0:1], s0, v12
	v_addc_co_u32_e64 v100, s[0:1], 0, v13, s[0:1]
	s_mov_b32 s0, 0x9000
	v_add_co_u32_e64 v101, s[0:1], s0, v12
	v_addc_co_u32_e64 v102, s[0:1], 0, v13, s[0:1]
	v_add_co_u32_e64 v103, s[0:1], s6, v12
	global_load_dwordx4 v[56:59], v[12:13], off
	global_load_dwordx4 v[4:7], v[12:13], off offset:2560
	global_load_dwordx4 v[48:51], v[14:15], off offset:1024
	;; [unrolled: 1-line block ×5, first 2 shown]
	v_addc_co_u32_e64 v104, s[0:1], 0, v13, s[0:1]
	global_load_dwordx4 v[12:15], v[97:98], off offset:1536
	global_load_dwordx4 v[28:31], v[99:100], off offset:2560
	;; [unrolled: 1-line block ×4, first 2 shown]
	global_load_dwordx4 v[76:79], v[93:94], off
	global_load_dwordx4 v[68:71], v[91:92], off offset:3072
	global_load_dwordx4 v[72:75], v[89:90], off offset:2048
	;; [unrolled: 1-line block ×7, first 2 shown]
.LBB0_13:
	s_or_b64 exec, exec, s[4:5]
	s_waitcnt vmcnt(5)
	v_add_f64 v[87:88], v[72:73], v[44:45]
	v_add_f64 v[89:90], v[52:53], v[56:57]
	v_add_f64 v[91:92], v[54:55], -v[78:79]
	v_add_f64 v[99:100], v[52:53], v[76:77]
	s_mov_b32 s0, 0x134454ff
	s_mov_b32 s1, 0x3fee6f0e
	v_add_f64 v[93:94], v[46:47], -v[74:75]
	v_add_f64 v[95:96], v[52:53], -v[44:45]
	v_fma_f64 v[87:88], v[87:88], -0.5, v[56:57]
	v_add_f64 v[97:98], v[76:77], -v[72:73]
	v_add_f64 v[89:90], v[44:45], v[89:90]
	v_fma_f64 v[56:57], v[99:100], -0.5, v[56:57]
	s_mov_b32 s4, 0x4755a5e
	s_mov_b32 s5, 0x3fe2cf23
	;; [unrolled: 1-line block ×4, first 2 shown]
	v_fma_f64 v[101:102], v[91:92], s[0:1], v[87:88]
	v_add_f64 v[103:104], v[44:45], -v[52:53]
	v_add_f64 v[105:106], v[72:73], -v[76:77]
	v_add_f64 v[95:96], v[97:98], v[95:96]
	v_add_f64 v[89:90], v[72:73], v[89:90]
	;; [unrolled: 1-line block ×3, first 2 shown]
	v_fma_f64 v[87:88], v[91:92], s[8:9], v[87:88]
	v_fma_f64 v[107:108], v[93:94], s[8:9], v[56:57]
	;; [unrolled: 1-line block ×3, first 2 shown]
	v_add_f64 v[101:102], v[54:55], v[58:59]
	v_fma_f64 v[56:57], v[93:94], s[0:1], v[56:57]
	s_mov_b32 s15, 0xbfe2cf23
	s_mov_b32 s14, s4
	v_add_f64 v[89:90], v[76:77], v[89:90]
	v_fma_f64 v[99:100], v[99:100], -0.5, v[58:59]
	v_add_f64 v[52:53], v[52:53], -v[76:77]
	v_fma_f64 v[76:77], v[93:94], s[14:15], v[87:88]
	v_fma_f64 v[87:88], v[91:92], s[4:5], v[107:108]
	v_add_f64 v[93:94], v[105:106], v[103:104]
	v_add_f64 v[103:104], v[54:55], v[78:79]
	v_fma_f64 v[56:57], v[91:92], s[14:15], v[56:57]
	v_add_f64 v[91:92], v[46:47], v[101:102]
	s_mov_b32 s6, 0x372fe950
	s_mov_b32 s7, 0x3fd3c6ef
	v_fma_f64 v[97:98], v[95:96], s[6:7], v[97:98]
	v_fma_f64 v[101:102], v[52:53], s[8:9], v[99:100]
	v_add_f64 v[44:45], v[44:45], -v[72:73]
	v_add_f64 v[72:73], v[54:55], -v[46:47]
	v_fma_f64 v[76:77], v[95:96], s[6:7], v[76:77]
	v_fma_f64 v[58:59], v[103:104], -0.5, v[58:59]
	v_fma_f64 v[87:88], v[93:94], s[6:7], v[87:88]
	v_fma_f64 v[93:94], v[93:94], s[6:7], v[56:57]
	v_add_f64 v[56:57], v[74:75], v[91:92]
	v_add_f64 v[95:96], v[64:65], v[68:69]
	v_fma_f64 v[99:100], v[52:53], s[0:1], v[99:100]
	v_add_f64 v[46:47], v[46:47], -v[54:55]
	v_add_f64 v[54:55], v[74:75], -v[78:79]
	;; [unrolled: 1-line block ×3, first 2 shown]
	v_fma_f64 v[91:92], v[44:45], s[14:15], v[101:102]
	v_fma_f64 v[101:102], v[44:45], s[0:1], v[58:59]
	v_add_f64 v[74:75], v[78:79], v[56:57]
	v_add_f64 v[56:57], v[48:49], v[40:41]
	v_fma_f64 v[78:79], v[95:96], -0.5, v[48:49]
	s_waitcnt vmcnt(1)
	v_add_f64 v[95:96], v[42:43], -v[62:63]
	v_fma_f64 v[99:100], v[44:45], s[4:5], v[99:100]
	v_add_f64 v[46:47], v[54:55], v[46:47]
	v_add_f64 v[54:55], v[60:61], v[40:41]
	v_fma_f64 v[44:45], v[44:45], s[8:9], v[58:59]
	v_add_f64 v[72:73], v[105:106], v[72:73]
	v_add_f64 v[56:57], v[64:65], v[56:57]
	v_add_f64 v[103:104], v[66:67], -v[70:71]
	v_fma_f64 v[58:59], v[95:96], s[0:1], v[78:79]
	v_add_f64 v[105:106], v[40:41], -v[64:65]
	v_add_f64 v[107:108], v[60:61], -v[68:69]
	v_fma_f64 v[48:49], v[54:55], -0.5, v[48:49]
	v_add_f64 v[54:55], v[66:67], v[70:71]
	v_fma_f64 v[44:45], v[52:53], s[4:5], v[44:45]
	v_fma_f64 v[91:92], v[72:73], s[6:7], v[91:92]
	;; [unrolled: 1-line block ×4, first 2 shown]
	v_add_f64 v[52:53], v[68:69], v[56:57]
	v_fma_f64 v[56:57], v[103:104], s[4:5], v[58:59]
	v_add_f64 v[58:59], v[107:108], v[105:106]
	v_fma_f64 v[72:73], v[95:96], s[8:9], v[78:79]
	v_fma_f64 v[78:79], v[103:104], s[8:9], v[48:49]
	v_fma_f64 v[54:55], v[54:55], -0.5, v[50:51]
	v_add_f64 v[105:106], v[40:41], -v[60:61]
	v_fma_f64 v[107:108], v[46:47], s[6:7], v[44:45]
	v_add_f64 v[44:45], v[62:63], v[42:43]
	v_fma_f64 v[101:102], v[46:47], s[6:7], v[101:102]
	v_add_f64 v[109:110], v[60:61], v[52:53]
	v_fma_f64 v[46:47], v[58:59], s[6:7], v[56:57]
	v_fma_f64 v[52:53], v[103:104], s[14:15], v[72:73]
	;; [unrolled: 1-line block ×3, first 2 shown]
	v_add_f64 v[72:73], v[50:51], v[42:43]
	v_fma_f64 v[78:79], v[105:106], s[8:9], v[54:55]
	v_add_f64 v[111:112], v[64:65], -v[68:69]
	v_add_f64 v[40:41], v[64:65], -v[40:41]
	v_fma_f64 v[44:45], v[44:45], -0.5, v[50:51]
	v_add_f64 v[50:51], v[68:69], -v[60:61]
	v_add_f64 v[60:61], v[42:43], -v[66:67]
	;; [unrolled: 1-line block ×3, first 2 shown]
	v_fma_f64 v[48:49], v[103:104], s[0:1], v[48:49]
	v_add_f64 v[68:69], v[66:67], v[72:73]
	v_fma_f64 v[72:73], v[111:112], s[14:15], v[78:79]
	v_fma_f64 v[54:55], v[105:106], s[0:1], v[54:55]
	;; [unrolled: 1-line block ×3, first 2 shown]
	v_add_f64 v[42:43], v[66:67], -v[42:43]
	v_add_f64 v[66:67], v[70:71], -v[62:63]
	v_add_f64 v[60:61], v[64:65], v[60:61]
	v_add_f64 v[40:41], v[50:51], v[40:41]
	v_fma_f64 v[44:45], v[111:112], s[8:9], v[44:45]
	v_fma_f64 v[48:49], v[95:96], s[14:15], v[48:49]
	v_add_f64 v[50:51], v[70:71], v[68:69]
	v_fma_f64 v[54:55], v[111:112], s[4:5], v[54:55]
	v_fma_f64 v[64:65], v[105:106], s[14:15], v[78:79]
	;; [unrolled: 3-line block ×3, first 2 shown]
	v_fma_f64 v[44:45], v[105:106], s[4:5], v[44:45]
	v_fma_f64 v[52:53], v[58:59], s[6:7], v[52:53]
	s_mov_b32 s16, 0x9b97f4a8
	s_mov_b32 s17, 0x3fe9e377
	v_fma_f64 v[48:49], v[40:41], s[6:7], v[48:49]
	v_add_f64 v[62:63], v[62:63], v[50:51]
	v_fma_f64 v[50:51], v[60:61], s[6:7], v[54:55]
	v_fma_f64 v[54:55], v[42:43], s[6:7], v[64:65]
	v_mul_f64 v[58:59], v[66:67], s[4:5]
	v_mul_f64 v[60:61], v[56:57], s[6:7]
	v_fma_f64 v[42:43], v[42:43], s[6:7], v[44:45]
	v_mul_f64 v[64:65], v[52:53], s[16:17]
	v_add_f64 v[40:41], v[109:110], v[89:90]
	v_mul_f64 v[44:45], v[48:49], s[6:7]
	v_mul_f64 v[56:57], v[56:57], s[8:9]
	v_add_f64 v[113:114], v[10:11], -v[38:39]
	v_fma_f64 v[68:69], v[46:47], s[16:17], v[58:59]
	v_fma_f64 v[70:71], v[54:55], s[0:1], v[60:61]
	v_mul_f64 v[46:47], v[46:47], s[14:15]
	v_mul_f64 v[58:59], v[42:43], s[6:7]
	;; [unrolled: 1-line block ×3, first 2 shown]
	v_fma_f64 v[78:79], v[50:51], s[4:5], -v[64:65]
	v_add_f64 v[50:51], v[89:90], -v[109:110]
	v_add_f64 v[89:90], v[4:5], v[8:9]
	v_fma_f64 v[72:73], v[42:43], s[0:1], -v[44:45]
	v_add_f64 v[44:45], v[87:88], v[70:71]
	v_fma_f64 v[95:96], v[66:67], s[16:17], v[46:47]
	v_fma_f64 v[105:106], v[48:49], s[8:9], -v[58:59]
	v_add_f64 v[64:65], v[28:29], v[32:33]
	v_add_f64 v[48:49], v[76:77], v[78:79]
	v_add_f64 v[66:67], v[87:88], -v[70:71]
	v_add_f64 v[70:71], v[76:77], -v[78:79]
	v_add_f64 v[76:77], v[28:29], v[89:90]
	v_add_f64 v[78:79], v[36:37], v[8:9]
	;; [unrolled: 1-line block ×3, first 2 shown]
	v_fma_f64 v[103:104], v[54:55], s[6:7], v[56:57]
	v_fma_f64 v[111:112], v[52:53], s[14:15], -v[60:61]
	v_add_f64 v[46:47], v[93:94], v[72:73]
	v_add_f64 v[54:55], v[91:92], v[95:96]
	v_fma_f64 v[109:110], v[64:65], -0.5, v[4:5]
	v_add_f64 v[64:65], v[97:98], -v[68:69]
	v_add_f64 v[68:69], v[93:94], -v[72:73]
	;; [unrolled: 1-line block ×6, first 2 shown]
	v_add_f64 v[91:92], v[32:33], v[76:77]
	v_fma_f64 v[4:5], v[78:79], -0.5, v[4:5]
	v_add_f64 v[52:53], v[62:63], v[74:75]
	v_add_f64 v[56:57], v[101:102], v[103:104]
	;; [unrolled: 1-line block ×3, first 2 shown]
	v_add_f64 v[62:63], v[74:75], -v[62:63]
	v_fma_f64 v[87:88], v[113:114], s[0:1], v[109:110]
	v_add_f64 v[74:75], v[101:102], -v[103:104]
	v_add_f64 v[93:94], v[97:98], v[93:94]
	v_fma_f64 v[97:98], v[113:114], s[8:9], v[109:110]
	v_add_f64 v[78:79], v[99:100], -v[111:112]
	v_add_f64 v[91:92], v[36:37], v[91:92]
	v_fma_f64 v[99:100], v[89:90], s[8:9], v[4:5]
	v_add_f64 v[103:104], v[8:9], -v[36:37]
	v_add_f64 v[8:9], v[28:29], -v[8:9]
	;; [unrolled: 1-line block ×3, first 2 shown]
	v_fma_f64 v[4:5], v[89:90], s[0:1], v[4:5]
	v_add_f64 v[95:96], v[30:31], v[34:35]
	v_fma_f64 v[87:88], v[89:90], s[4:5], v[87:88]
	v_add_f64 v[101:102], v[6:7], v[10:11]
	;; [unrolled: 2-line block ×3, first 2 shown]
	v_add_f64 v[76:77], v[107:108], -v[105:106]
	v_add_f64 v[8:9], v[36:37], v[8:9]
	v_add_f64 v[36:37], v[38:39], v[10:11]
	v_fma_f64 v[4:5], v[113:114], s[14:15], v[4:5]
	v_fma_f64 v[95:96], v[95:96], -0.5, v[6:7]
	v_fma_f64 v[87:88], v[93:94], s[6:7], v[87:88]
	v_fma_f64 v[99:100], v[113:114], s[4:5], v[99:100]
	v_add_f64 v[89:90], v[30:31], v[101:102]
	v_add_f64 v[28:29], v[28:29], -v[32:33]
	v_add_f64 v[32:33], v[10:11], -v[30:31]
	;; [unrolled: 1-line block ×3, first 2 shown]
	v_fma_f64 v[93:94], v[93:94], s[6:7], v[97:98]
	v_add_f64 v[97:98], v[16:17], v[20:21]
	v_fma_f64 v[6:7], v[36:37], -0.5, v[6:7]
	v_fma_f64 v[36:37], v[8:9], s[6:7], v[4:5]
	v_add_f64 v[4:5], v[12:13], v[0:1]
	v_fma_f64 v[101:102], v[103:104], s[8:9], v[95:96]
	v_add_f64 v[89:90], v[34:35], v[89:90]
	v_add_f64 v[32:33], v[105:106], v[32:33]
	v_fma_f64 v[99:100], v[8:9], s[6:7], v[99:100]
	v_fma_f64 v[8:9], v[97:98], -0.5, v[0:1]
	s_waitcnt vmcnt(0)
	v_add_f64 v[97:98], v[14:15], -v[26:27]
	v_fma_f64 v[95:96], v[103:104], s[0:1], v[95:96]
	v_fma_f64 v[105:106], v[28:29], s[0:1], v[6:7]
	v_add_f64 v[10:11], v[30:31], -v[10:11]
	v_add_f64 v[30:31], v[34:35], -v[38:39]
	v_fma_f64 v[6:7], v[28:29], s[8:9], v[6:7]
	v_add_f64 v[4:5], v[20:21], v[4:5]
	v_fma_f64 v[101:102], v[28:29], s[14:15], v[101:102]
	v_add_f64 v[89:90], v[38:39], v[89:90]
	v_fma_f64 v[34:35], v[97:98], s[0:1], v[8:9]
	v_add_f64 v[38:39], v[22:23], -v[18:19]
	v_add_f64 v[107:108], v[12:13], -v[20:21]
	v_add_f64 v[109:110], v[24:25], -v[16:17]
	v_fma_f64 v[28:29], v[28:29], s[4:5], v[95:96]
	v_add_f64 v[95:96], v[12:13], v[24:25]
	v_fma_f64 v[105:106], v[103:104], s[14:15], v[105:106]
	v_add_f64 v[10:11], v[30:31], v[10:11]
	;; [unrolled: 2-line block ×3, first 2 shown]
	v_fma_f64 v[101:102], v[32:33], s[6:7], v[101:102]
	v_fma_f64 v[30:31], v[38:39], s[4:5], v[34:35]
	v_add_f64 v[34:35], v[109:110], v[107:108]
	v_fma_f64 v[8:9], v[97:98], s[8:9], v[8:9]
	v_fma_f64 v[0:1], v[95:96], -0.5, v[0:1]
	v_fma_f64 v[95:96], v[32:33], s[6:7], v[28:29]
	v_fma_f64 v[103:104], v[10:11], s[6:7], v[105:106]
	;; [unrolled: 1-line block ×3, first 2 shown]
	v_add_f64 v[10:11], v[24:25], v[4:5]
	v_add_f64 v[4:5], v[18:19], v[22:23]
	;; [unrolled: 1-line block ×3, first 2 shown]
	v_fma_f64 v[6:7], v[34:35], s[6:7], v[30:31]
	v_fma_f64 v[8:9], v[38:39], s[14:15], v[8:9]
	;; [unrolled: 1-line block ×3, first 2 shown]
	v_add_f64 v[30:31], v[20:21], -v[12:13]
	v_add_f64 v[107:108], v[16:17], -v[24:25]
	v_add_f64 v[109:110], v[14:15], v[2:3]
	v_fma_f64 v[4:5], v[4:5], -0.5, v[2:3]
	v_add_f64 v[12:13], v[12:13], -v[24:25]
	v_add_f64 v[16:17], v[20:21], -v[16:17]
	v_fma_f64 v[2:3], v[32:33], -0.5, v[2:3]
	v_fma_f64 v[0:1], v[38:39], s[0:1], v[0:1]
	v_fma_f64 v[8:9], v[34:35], s[6:7], v[8:9]
	;; [unrolled: 1-line block ×3, first 2 shown]
	v_add_f64 v[20:21], v[107:108], v[30:31]
	v_add_f64 v[28:29], v[22:23], v[109:110]
	v_fma_f64 v[30:31], v[12:13], s[8:9], v[4:5]
	v_add_f64 v[32:33], v[14:15], -v[22:23]
	v_add_f64 v[34:35], v[26:27], -v[18:19]
	v_fma_f64 v[38:39], v[16:17], s[0:1], v[2:3]
	v_add_f64 v[14:15], v[22:23], -v[14:15]
	v_add_f64 v[22:23], v[18:19], -v[26:27]
	v_fma_f64 v[2:3], v[16:17], s[8:9], v[2:3]
	v_fma_f64 v[4:5], v[12:13], s[0:1], v[4:5]
	;; [unrolled: 1-line block ×3, first 2 shown]
	v_add_f64 v[18:19], v[18:19], v[28:29]
	v_fma_f64 v[28:29], v[16:17], s[14:15], v[30:31]
	v_add_f64 v[30:31], v[34:35], v[32:33]
	s_movk_i32 s18, 0xffb8
	v_add_f64 v[14:15], v[22:23], v[14:15]
	v_fma_f64 v[2:3], v[12:13], s[4:5], v[2:3]
	v_fma_f64 v[4:5], v[16:17], s[4:5], v[4:5]
	;; [unrolled: 1-line block ×5, first 2 shown]
	v_add_f64 v[24:25], v[26:27], v[18:19]
	v_fma_f64 v[18:19], v[30:31], s[6:7], v[28:29]
	v_mul_f64 v[22:23], v[6:7], s[16:17]
	v_fma_f64 v[2:3], v[14:15], s[6:7], v[2:3]
	v_fma_f64 v[4:5], v[30:31], s[6:7], v[4:5]
	;; [unrolled: 1-line block ×3, first 2 shown]
	v_mul_f64 v[14:15], v[12:13], s[6:7]
	v_mul_f64 v[26:27], v[20:21], s[6:7]
	;; [unrolled: 1-line block ×5, first 2 shown]
	v_fma_f64 v[30:31], v[18:19], s[4:5], v[22:23]
	v_mul_f64 v[22:23], v[2:3], s[6:7]
	v_mul_f64 v[32:33], v[4:5], s[16:17]
	v_fma_f64 v[34:35], v[16:17], s[0:1], v[14:15]
	v_fma_f64 v[38:39], v[2:3], s[0:1], -v[26:27]
	v_fma_f64 v[97:98], v[4:5], s[4:5], -v[28:29]
	v_fma_f64 v[12:13], v[16:17], s[6:7], v[12:13]
	v_fma_f64 v[107:108], v[18:19], s[16:17], v[6:7]
	v_add_f64 v[0:1], v[91:92], v[10:11]
	v_fma_f64 v[109:110], v[20:21], s[8:9], -v[22:23]
	v_fma_f64 v[111:112], v[8:9], s[14:15], -v[32:33]
	v_add_f64 v[2:3], v[87:88], v[30:31]
	v_add_f64 v[4:5], v[99:100], v[34:35]
	;; [unrolled: 1-line block ×4, first 2 shown]
	v_add_f64 v[10:11], v[91:92], -v[10:11]
	v_add_f64 v[26:27], v[87:88], -v[30:31]
	;; [unrolled: 1-line block ×3, first 2 shown]
	v_add_f64 v[18:19], v[103:104], v[12:13]
	v_add_f64 v[30:31], v[36:37], -v[38:39]
	v_add_f64 v[32:33], v[93:94], -v[97:98]
	;; [unrolled: 1-line block ×3, first 2 shown]
	v_mul_u32_u24_e32 v12, 10, v82
	v_add_f64 v[14:15], v[89:90], v[24:25]
	v_add_f64 v[16:17], v[101:102], v[107:108]
	v_lshl_add_u32 v83, v12, 3, 0
	s_load_dwordx2 s[2:3], s[2:3], 0x0
	v_add_f64 v[20:21], v[105:106], v[109:110]
	ds_write_b128 v83, v[40:43]
	ds_write_b128 v83, v[44:47] offset:16
	ds_write_b128 v83, v[48:51] offset:32
	;; [unrolled: 1-line block ×4, first 2 shown]
	v_mad_i32_i24 v46, v82, s18, v83
	v_add_f64 v[22:23], v[95:96], v[111:112]
	v_add_f64 v[24:25], v[89:90], -v[24:25]
	v_add_u32_e32 v91, 0x800, v46
	v_add_u32_e32 v103, 0x1400, v46
	;; [unrolled: 1-line block ×8, first 2 shown]
	s_movk_i32 s18, 0xcd
	v_add_f64 v[34:35], v[101:102], -v[107:108]
	v_add_f64 v[87:88], v[105:106], -v[109:110]
	;; [unrolled: 1-line block ×3, first 2 shown]
	ds_write_b128 v83, v[0:3] offset:12800
	ds_write_b128 v83, v[4:7] offset:12816
	;; [unrolled: 1-line block ×5, first 2 shown]
	s_waitcnt lgkmcnt(0)
	s_barrier
	ds_read2_b64 v[0:3], v46 offset1:160
	ds_read2_b64 v[4:7], v91 offset0:64 offset1:224
	ds_read2_b64 v[8:11], v103 offset1:160
	ds_read2_b64 v[26:29], v12 offset0:64 offset1:224
	v_lshl_add_u32 v50, v86, 3, 0
	ds_read2_b64 v[30:33], v127 offset0:32 offset1:192
	ds_read2_b64 v[38:41], v47 offset0:32 offset1:192
	;; [unrolled: 1-line block ×5, first 2 shown]
	ds_read_b64 v[111:112], v50
	ds_read_b64 v[113:114], v46 offset:24320
	s_waitcnt lgkmcnt(0)
	s_barrier
	ds_write_b128 v83, v[52:55]
	ds_write_b128 v83, v[56:59] offset:16
	ds_write_b128 v83, v[60:63] offset:32
	;; [unrolled: 1-line block ×9, first 2 shown]
	v_mul_lo_u16_sdwa v14, v82, s18 dst_sel:DWORD dst_unused:UNUSED_PAD src0_sel:BYTE_0 src1_sel:DWORD
	v_lshrrev_b16_e32 v14, 11, v14
	v_mul_lo_u16_e32 v15, 10, v14
	v_sub_u16_e32 v15, v82, v15
	v_mov_b32_e32 v16, 9
	v_mul_u32_u24_sdwa v16, v15, v16 dst_sel:DWORD dst_unused:UNUSED_PAD src0_sel:BYTE_0 src1_sel:DWORD
	v_lshlrev_b32_e32 v83, 4, v16
	s_waitcnt lgkmcnt(0)
	s_barrier
	global_load_dwordx4 v[18:21], v83, s[12:13]
	v_add_u32_e32 v13, 0xa0, v82
	s_mov_b32 s18, 0xcccd
	v_mul_u32_u24_sdwa v16, v13, s18 dst_sel:DWORD dst_unused:UNUSED_PAD src0_sel:WORD_0 src1_sel:DWORD
	v_lshrrev_b32_e32 v16, 19, v16
	v_mul_lo_u16_e32 v17, 10, v16
	v_sub_u16_e32 v17, v13, v17
	v_mul_u32_u24_e32 v22, 9, v17
	v_lshlrev_b32_e32 v128, 4, v22
	global_load_dwordx4 v[22:25], v128, s[12:13]
	global_load_dwordx4 v[34:37], v83, s[12:13] offset:16
	global_load_dwordx4 v[52:55], v128, s[12:13] offset:16
	;; [unrolled: 1-line block ×7, first 2 shown]
	ds_read2_b64 v[91:94], v91 offset0:64 offset1:224
	global_load_dwordx4 v[95:98], v83, s[12:13] offset:80
	global_load_dwordx4 v[99:102], v128, s[12:13] offset:64
	ds_read2_b64 v[103:106], v103 offset1:160
	global_load_dwordx4 v[107:110], v83, s[12:13] offset:128
	s_waitcnt vmcnt(11) lgkmcnt(1)
	v_mul_f64 v[115:116], v[91:92], v[20:21]
	v_mul_f64 v[20:21], v[4:5], v[20:21]
	s_waitcnt vmcnt(10)
	v_mul_f64 v[117:118], v[93:94], v[24:25]
	v_mul_f64 v[24:25], v[6:7], v[24:25]
	v_fma_f64 v[115:116], v[4:5], v[18:19], -v[115:116]
	v_fma_f64 v[119:120], v[91:92], v[18:19], v[20:21]
	s_waitcnt vmcnt(9) lgkmcnt(0)
	v_mul_f64 v[91:92], v[103:104], v[36:37]
	v_mul_f64 v[36:37], v[8:9], v[36:37]
	global_load_dwordx4 v[18:21], v83, s[12:13] offset:96
	v_fma_f64 v[6:7], v[6:7], v[22:23], -v[117:118]
	v_fma_f64 v[4:5], v[93:94], v[22:23], v[24:25]
	ds_read2_b64 v[22:25], v12 offset0:64 offset1:224
	s_waitcnt vmcnt(9)
	v_mul_f64 v[93:94], v[105:106], v[54:55]
	v_mul_f64 v[54:55], v[10:11], v[54:55]
	v_fma_f64 v[117:118], v[8:9], v[34:35], -v[91:92]
	v_fma_f64 v[103:104], v[103:104], v[34:35], v[36:37]
	global_load_dwordx4 v[34:37], v83, s[12:13] offset:112
	s_waitcnt vmcnt(9) lgkmcnt(0)
	v_mul_f64 v[8:9], v[22:23], v[58:59]
	v_fma_f64 v[121:122], v[10:11], v[52:53], -v[93:94]
	v_mul_f64 v[10:11], v[26:27], v[58:59]
	v_fma_f64 v[105:106], v[105:106], v[52:53], v[54:55]
	global_load_dwordx4 v[52:55], v128, s[12:13] offset:80
	global_load_dwordx4 v[91:94], v128, s[12:13] offset:96
	v_fma_f64 v[123:124], v[26:27], v[56:57], -v[8:9]
	s_waitcnt vmcnt(10)
	v_mul_f64 v[8:9], v[28:29], v[62:63]
	v_mul_f64 v[58:59], v[24:25], v[62:63]
	ds_read_b64 v[62:63], v46 offset:24320
	v_fma_f64 v[125:126], v[22:23], v[56:57], v[10:11]
	ds_read_b64 v[56:57], v50
	v_fma_f64 v[8:9], v[24:25], v[60:61], v[8:9]
	global_load_dwordx4 v[22:25], v128, s[12:13] offset:112
	v_fma_f64 v[10:11], v[28:29], v[60:61], -v[58:59]
	s_waitcnt vmcnt(10) lgkmcnt(0)
	v_mul_f64 v[26:27], v[56:57], v[74:75]
	v_mul_f64 v[58:59], v[111:112], v[74:75]
	v_fma_f64 v[60:61], v[111:112], v[72:73], -v[26:27]
	v_fma_f64 v[72:73], v[56:57], v[72:73], v[58:59]
	global_load_dwordx4 v[56:59], v128, s[12:13] offset:128
	ds_read2_b64 v[26:29], v127 offset0:32 offset1:192
	s_waitcnt vmcnt(10) lgkmcnt(0)
	v_mul_f64 v[74:75], v[28:29], v[78:79]
	v_mul_f64 v[78:79], v[32:33], v[78:79]
	v_fma_f64 v[74:75], v[32:33], v[76:77], -v[74:75]
	v_fma_f64 v[76:77], v[28:29], v[76:77], v[78:79]
	s_waitcnt vmcnt(9)
	v_mul_f64 v[28:29], v[26:27], v[89:90]
	v_mul_f64 v[32:33], v[30:31], v[89:90]
	v_fma_f64 v[78:79], v[30:31], v[87:88], -v[28:29]
	ds_read2_b64 v[28:31], v47 offset0:32 offset1:192
	v_fma_f64 v[87:88], v[26:27], v[87:88], v[32:33]
	s_waitcnt vmcnt(8)
	v_mul_f64 v[32:33], v[40:41], v[97:98]
	s_waitcnt lgkmcnt(0)
	v_mul_f64 v[26:27], v[30:31], v[97:98]
	s_waitcnt vmcnt(7)
	v_mul_f64 v[89:90], v[28:29], v[101:102]
	v_fma_f64 v[40:41], v[40:41], v[95:96], -v[26:27]
	v_fma_f64 v[95:96], v[30:31], v[95:96], v[32:33]
	ds_read2_b64 v[30:33], v48 offset0:32 offset1:192
	v_mul_f64 v[26:27], v[38:39], v[101:102]
	v_fma_f64 v[38:39], v[38:39], v[99:100], -v[89:90]
	s_waitcnt vmcnt(5) lgkmcnt(0)
	v_mul_f64 v[89:90], v[32:33], v[20:21]
	v_mul_f64 v[20:21], v[44:45], v[20:21]
	v_fma_f64 v[97:98], v[28:29], v[99:100], v[26:27]
	ds_read2_b64 v[26:29], v49 offset0:32 offset1:192
	v_fma_f64 v[44:45], v[44:45], v[18:19], -v[89:90]
	v_fma_f64 v[32:33], v[32:33], v[18:19], v[20:21]
	s_waitcnt vmcnt(4) lgkmcnt(0)
	v_mul_f64 v[89:90], v[28:29], v[36:37]
	v_mul_f64 v[36:37], v[66:67], v[36:37]
	s_waitcnt vmcnt(3)
	v_mul_f64 v[99:100], v[30:31], v[54:55]
	v_mul_f64 v[54:55], v[42:43], v[54:55]
	ds_read2_b64 v[18:21], v51 offset0:32 offset1:192
	v_add_f64 v[111:112], v[76:77], -v[32:33]
	v_fma_f64 v[66:67], v[66:67], v[34:35], -v[89:90]
	v_fma_f64 v[28:29], v[28:29], v[34:35], v[36:37]
	s_waitcnt vmcnt(2)
	v_mul_f64 v[36:37], v[26:27], v[93:94]
	v_fma_f64 v[34:35], v[42:43], v[52:53], -v[99:100]
	v_mul_f64 v[42:43], v[64:65], v[93:94]
	v_fma_f64 v[30:31], v[30:31], v[52:53], v[54:55]
	s_waitcnt lgkmcnt(0)
	v_mul_f64 v[52:53], v[20:21], v[109:110]
	v_mul_f64 v[54:55], v[70:71], v[109:110]
	v_add_f64 v[89:90], v[0:1], v[117:118]
	v_add_f64 v[93:94], v[60:61], v[40:41]
	v_fma_f64 v[36:37], v[64:65], v[91:92], -v[36:37]
	s_waitcnt vmcnt(1)
	v_mul_f64 v[64:65], v[18:19], v[24:25]
	v_fma_f64 v[42:43], v[26:27], v[91:92], v[42:43]
	v_mul_f64 v[91:92], v[68:69], v[24:25]
	v_fma_f64 v[52:53], v[70:71], v[107:108], -v[52:53]
	v_fma_f64 v[20:21], v[20:21], v[107:108], v[54:55]
	v_add_f64 v[70:71], v[89:90], v[60:61]
	v_fma_f64 v[89:90], v[93:94], -0.5, v[0:1]
	v_add_f64 v[93:94], v[103:104], -v[28:29]
	v_fma_f64 v[54:55], v[68:69], v[22:23], -v[64:65]
	v_add_f64 v[64:65], v[117:118], v[66:67]
	v_fma_f64 v[18:19], v[18:19], v[22:23], v[91:92]
	s_waitcnt vmcnt(0)
	v_mul_f64 v[22:23], v[62:63], v[58:59]
	v_mul_f64 v[58:59], v[113:114], v[58:59]
	v_add_f64 v[68:69], v[70:71], v[40:41]
	v_add_f64 v[91:92], v[72:73], -v[95:96]
	v_fma_f64 v[70:71], v[93:94], s[0:1], v[89:90]
	v_add_f64 v[99:100], v[117:118], -v[60:61]
	v_add_f64 v[101:102], v[66:67], -v[40:41]
	v_fma_f64 v[89:90], v[93:94], s[8:9], v[89:90]
	v_fma_f64 v[0:1], v[64:65], -0.5, v[0:1]
	ds_read2_b64 v[24:27], v46 offset1:160
	v_add_f64 v[64:65], v[72:73], v[95:96]
	v_fma_f64 v[22:23], v[113:114], v[56:57], -v[22:23]
	v_fma_f64 v[56:57], v[62:63], v[56:57], v[58:59]
	v_add_f64 v[58:59], v[68:69], v[66:67]
	v_fma_f64 v[62:63], v[91:92], s[4:5], v[70:71]
	v_add_f64 v[68:69], v[99:100], v[101:102]
	v_fma_f64 v[70:71], v[91:92], s[14:15], v[89:90]
	v_fma_f64 v[89:90], v[91:92], s[8:9], v[0:1]
	v_add_f64 v[99:100], v[60:61], -v[117:118]
	v_add_f64 v[101:102], v[40:41], -v[66:67]
	v_fma_f64 v[0:1], v[91:92], s[0:1], v[0:1]
	s_waitcnt lgkmcnt(0)
	v_add_f64 v[91:92], v[24:25], v[103:104]
	v_fma_f64 v[64:65], v[64:65], -0.5, v[24:25]
	v_add_f64 v[66:67], v[117:118], -v[66:67]
	v_fma_f64 v[62:63], v[68:69], s[6:7], v[62:63]
	v_fma_f64 v[68:69], v[68:69], s[6:7], v[70:71]
	;; [unrolled: 1-line block ×3, first 2 shown]
	v_add_f64 v[89:90], v[99:100], v[101:102]
	v_add_f64 v[99:100], v[103:104], v[28:29]
	v_fma_f64 v[0:1], v[93:94], s[14:15], v[0:1]
	v_add_f64 v[91:92], v[91:92], v[72:73]
	v_fma_f64 v[93:94], v[66:67], s[8:9], v[64:65]
	v_add_f64 v[40:41], v[60:61], -v[40:41]
	v_add_f64 v[60:61], v[103:104], -v[72:73]
	;; [unrolled: 1-line block ×3, first 2 shown]
	v_fma_f64 v[64:65], v[66:67], s[0:1], v[64:65]
	v_fma_f64 v[24:25], v[99:100], -0.5, v[24:25]
	v_fma_f64 v[70:71], v[89:90], s[6:7], v[70:71]
	v_fma_f64 v[0:1], v[89:90], s[6:7], v[0:1]
	v_add_f64 v[89:90], v[91:92], v[95:96]
	v_add_f64 v[91:92], v[115:116], v[123:124]
	v_fma_f64 v[93:94], v[40:41], s[14:15], v[93:94]
	v_add_f64 v[60:61], v[60:61], v[101:102]
	v_add_f64 v[72:73], v[72:73], -v[103:104]
	v_add_f64 v[95:96], v[95:96], -v[28:29]
	v_fma_f64 v[64:65], v[40:41], s[4:5], v[64:65]
	v_fma_f64 v[99:100], v[40:41], s[0:1], v[24:25]
	;; [unrolled: 1-line block ×3, first 2 shown]
	v_add_f64 v[40:41], v[91:92], v[74:75]
	v_add_f64 v[28:29], v[89:90], v[28:29]
	v_fma_f64 v[89:90], v[60:61], s[6:7], v[93:94]
	v_add_f64 v[93:94], v[123:124], -v[74:75]
	v_add_f64 v[72:73], v[72:73], v[95:96]
	v_add_f64 v[95:96], v[52:53], -v[44:45]
	v_add_f64 v[101:102], v[74:75], -v[123:124]
	v_add_f64 v[103:104], v[44:45], -v[52:53]
	v_add_f64 v[40:41], v[40:41], v[44:45]
	v_add_f64 v[107:108], v[76:77], v[32:33]
	v_add_f64 v[91:92], v[74:75], v[44:45]
	v_fma_f64 v[60:61], v[60:61], s[6:7], v[64:65]
	v_fma_f64 v[64:65], v[66:67], s[14:15], v[99:100]
	v_add_f64 v[99:100], v[123:124], v[52:53]
	v_add_f64 v[93:94], v[93:94], v[95:96]
	;; [unrolled: 1-line block ×5, first 2 shown]
	v_fma_f64 v[103:104], v[107:108], -0.5, v[119:120]
	v_add_f64 v[52:53], v[123:124], -v[52:53]
	v_add_f64 v[117:118], v[119:120], v[125:126]
	v_fma_f64 v[24:25], v[66:67], s[4:5], v[24:25]
	v_fma_f64 v[66:67], v[91:92], -0.5, v[115:116]
	v_fma_f64 v[99:100], v[99:100], -0.5, v[115:116]
	v_add_f64 v[44:45], v[74:75], -v[44:45]
	v_add_f64 v[74:75], v[125:126], -v[76:77]
	;; [unrolled: 1-line block ×3, first 2 shown]
	v_fma_f64 v[95:96], v[95:96], -0.5, v[119:120]
	v_add_f64 v[113:114], v[76:77], -v[125:126]
	v_add_f64 v[115:116], v[32:33], -v[20:21]
	;; [unrolled: 1-line block ×3, first 2 shown]
	v_fma_f64 v[119:120], v[52:53], s[8:9], v[103:104]
	v_add_f64 v[76:77], v[117:118], v[76:77]
	v_fma_f64 v[103:104], v[52:53], s[0:1], v[103:104]
	v_add_f64 v[74:75], v[74:75], v[107:108]
	v_fma_f64 v[107:108], v[44:45], s[0:1], v[95:96]
	v_fma_f64 v[95:96], v[44:45], s[8:9], v[95:96]
	v_add_f64 v[113:114], v[113:114], v[115:116]
	v_fma_f64 v[115:116], v[111:112], s[0:1], v[99:100]
	v_fma_f64 v[109:110], v[91:92], s[0:1], v[66:67]
	;; [unrolled: 1-line block ×5, first 2 shown]
	v_add_f64 v[32:33], v[76:77], v[32:33]
	v_fma_f64 v[44:45], v[44:45], s[4:5], v[103:104]
	v_fma_f64 v[107:108], v[52:53], s[14:15], v[107:108]
	;; [unrolled: 1-line block ×8, first 2 shown]
	v_add_f64 v[20:21], v[32:33], v[20:21]
	v_fma_f64 v[32:33], v[74:75], s[6:7], v[44:45]
	v_fma_f64 v[99:100], v[113:114], s[6:7], v[107:108]
	v_fma_f64 v[107:108], v[101:102], s[6:7], v[115:116]
	v_fma_f64 v[109:110], v[93:94], s[6:7], v[109:110]
	v_fma_f64 v[66:67], v[93:94], s[6:7], v[66:67]
	v_fma_f64 v[76:77], v[101:102], s[6:7], v[91:92]
	v_mul_f64 v[91:92], v[95:96], s[4:5]
	v_fma_f64 v[52:53], v[113:114], s[6:7], v[52:53]
	v_mul_f64 v[103:104], v[32:33], s[16:17]
	v_mul_f64 v[93:94], v[99:100], s[0:1]
	;; [unrolled: 1-line block ×3, first 2 shown]
	v_fma_f64 v[64:65], v[72:73], s[6:7], v[64:65]
	v_fma_f64 v[24:25], v[72:73], s[6:7], v[24:25]
	v_mul_f64 v[72:73], v[66:67], s[16:17]
	v_fma_f64 v[74:75], v[109:110], s[16:17], v[91:92]
	v_add_f64 v[44:45], v[58:59], v[40:41]
	v_fma_f64 v[66:67], v[66:67], s[14:15], -v[103:104]
	v_add_f64 v[103:104], v[2:3], v[121:122]
	v_fma_f64 v[91:92], v[76:77], s[6:7], v[93:94]
	v_fma_f64 v[93:94], v[52:53], s[0:1], -v[101:102]
	v_mul_f64 v[52:53], v[52:53], s[6:7]
	v_mul_f64 v[101:102], v[109:110], s[14:15]
	;; [unrolled: 1-line block ×3, first 2 shown]
	v_fma_f64 v[32:33], v[32:33], s[4:5], -v[72:73]
	v_add_f64 v[72:73], v[62:63], v[74:75]
	v_add_f64 v[40:41], v[58:59], -v[40:41]
	v_add_f64 v[58:59], v[62:63], -v[74:75]
	v_add_f64 v[62:63], v[103:104], v[78:79]
	v_fma_f64 v[52:53], v[107:108], s[8:9], -v[52:53]
	v_add_f64 v[107:108], v[78:79], v[34:35]
	v_fma_f64 v[95:96], v[95:96], s[16:17], v[101:102]
	v_fma_f64 v[76:77], v[99:100], s[6:7], v[76:77]
	v_add_f64 v[99:100], v[68:69], v[32:33]
	v_add_f64 v[101:102], v[28:29], v[20:21]
	v_add_f64 v[32:33], v[68:69], -v[32:33]
	v_add_f64 v[68:69], v[28:29], -v[20:21]
	v_add_f64 v[20:21], v[121:122], v[54:55]
	v_add_f64 v[28:29], v[62:63], v[34:35]
	v_fma_f64 v[74:75], v[107:108], -0.5, v[2:3]
	v_add_f64 v[103:104], v[105:106], -v[18:19]
	v_add_f64 v[111:112], v[0:1], v[93:94]
	v_add_f64 v[113:114], v[89:90], v[95:96]
	v_add_f64 v[0:1], v[0:1], -v[93:94]
	v_add_f64 v[89:90], v[89:90], -v[95:96]
	;; [unrolled: 1-line block ×4, first 2 shown]
	v_fma_f64 v[2:3], v[20:21], -0.5, v[2:3]
	v_add_f64 v[20:21], v[28:29], v[54:55]
	v_add_f64 v[28:29], v[87:88], v[30:31]
	;; [unrolled: 1-line block ×5, first 2 shown]
	v_add_f64 v[70:71], v[70:71], -v[91:92]
	v_fma_f64 v[62:63], v[103:104], s[0:1], v[74:75]
	v_add_f64 v[91:92], v[87:88], -v[30:31]
	v_add_f64 v[76:77], v[64:65], -v[76:77]
	v_add_f64 v[65:66], v[60:61], -v[66:67]
	v_fma_f64 v[60:61], v[103:104], s[8:9], v[74:75]
	v_add_f64 v[117:118], v[24:25], v[52:53]
	v_add_f64 v[107:108], v[24:25], -v[52:53]
	v_add_f64 v[52:53], v[93:94], v[95:96]
	v_add_f64 v[74:75], v[78:79], -v[121:122]
	v_add_f64 v[93:94], v[34:35], -v[54:55]
	v_add_f64 v[95:96], v[26:27], v[105:106]
	v_fma_f64 v[28:29], v[28:29], -0.5, v[26:27]
	v_add_f64 v[54:55], v[121:122], -v[54:55]
	v_fma_f64 v[24:25], v[91:92], s[4:5], v[62:63]
	v_fma_f64 v[62:63], v[91:92], s[8:9], v[2:3]
	;; [unrolled: 1-line block ×4, first 2 shown]
	v_add_f64 v[91:92], v[105:106], v[18:19]
	v_add_f64 v[74:75], v[74:75], v[93:94]
	;; [unrolled: 1-line block ×3, first 2 shown]
	v_fma_f64 v[95:96], v[54:55], s[8:9], v[28:29]
	v_add_f64 v[34:35], v[78:79], -v[34:35]
	v_fma_f64 v[62:63], v[103:104], s[4:5], v[62:63]
	v_fma_f64 v[2:3], v[103:104], s[14:15], v[2:3]
	v_add_f64 v[78:79], v[105:106], -v[87:88]
	v_add_f64 v[103:104], v[18:19], -v[30:31]
	v_fma_f64 v[26:27], v[91:92], -0.5, v[26:27]
	v_fma_f64 v[28:29], v[54:55], s[0:1], v[28:29]
	v_fma_f64 v[24:25], v[52:53], s[6:7], v[24:25]
	;; [unrolled: 1-line block ×3, first 2 shown]
	v_add_f64 v[95:96], v[6:7], v[10:11]
	v_fma_f64 v[52:53], v[52:53], s[6:7], v[60:61]
	v_fma_f64 v[60:61], v[74:75], s[6:7], v[62:63]
	v_add_f64 v[62:63], v[93:94], v[30:31]
	v_add_f64 v[78:79], v[78:79], v[103:104]
	v_fma_f64 v[93:94], v[34:35], s[0:1], v[26:27]
	v_add_f64 v[87:88], v[87:88], -v[105:106]
	v_add_f64 v[30:31], v[30:31], -v[18:19]
	v_fma_f64 v[2:3], v[74:75], s[6:7], v[2:3]
	v_add_f64 v[74:75], v[38:39], v[36:37]
	v_fma_f64 v[28:29], v[34:35], s[4:5], v[28:29]
	v_fma_f64 v[26:27], v[34:35], s[8:9], v[26:27]
	v_add_f64 v[34:35], v[95:96], v[38:39]
	v_add_f64 v[18:19], v[62:63], v[18:19]
	v_fma_f64 v[62:63], v[78:79], s[6:7], v[91:92]
	v_fma_f64 v[91:92], v[54:55], s[14:15], v[93:94]
	v_add_f64 v[30:31], v[87:88], v[30:31]
	v_fma_f64 v[74:75], v[74:75], -0.5, v[6:7]
	v_add_f64 v[103:104], v[8:9], -v[56:57]
	v_fma_f64 v[26:27], v[54:55], s[4:5], v[26:27]
	v_add_f64 v[34:35], v[34:35], v[36:37]
	v_fma_f64 v[28:29], v[78:79], s[6:7], v[28:29]
	v_add_f64 v[78:79], v[10:11], v[22:23]
	v_add_f64 v[95:96], v[10:11], -v[38:39]
	v_fma_f64 v[54:55], v[30:31], s[6:7], v[91:92]
	v_add_f64 v[91:92], v[97:98], v[42:43]
	v_fma_f64 v[87:88], v[103:104], s[0:1], v[74:75]
	v_fma_f64 v[26:27], v[30:31], s[6:7], v[26:27]
	v_add_f64 v[30:31], v[34:35], v[22:23]
	v_fma_f64 v[34:35], v[103:104], s[8:9], v[74:75]
	v_add_f64 v[74:75], v[8:9], v[56:57]
	v_add_f64 v[105:106], v[22:23], -v[36:37]
	v_fma_f64 v[6:7], v[78:79], -0.5, v[6:7]
	v_fma_f64 v[78:79], v[91:92], -0.5, v[4:5]
	v_add_f64 v[91:92], v[10:11], -v[22:23]
	v_add_f64 v[93:94], v[97:98], -v[42:43]
	;; [unrolled: 1-line block ×5, first 2 shown]
	v_fma_f64 v[38:39], v[74:75], -0.5, v[4:5]
	v_add_f64 v[95:96], v[95:96], v[105:106]
	v_add_f64 v[121:122], v[8:9], -v[97:98]
	v_fma_f64 v[105:106], v[91:92], s[8:9], v[78:79]
	v_add_f64 v[123:124], v[56:57], -v[42:43]
	v_fma_f64 v[74:75], v[93:94], s[8:9], v[6:7]
	v_add_f64 v[4:5], v[4:5], v[8:9]
	v_add_f64 v[10:11], v[10:11], v[22:23]
	v_fma_f64 v[22:23], v[36:37], s[0:1], v[38:39]
	v_add_f64 v[8:9], v[97:98], -v[8:9]
	v_add_f64 v[125:126], v[42:43], -v[56:57]
	v_fma_f64 v[6:7], v[93:94], s[0:1], v[6:7]
	v_fma_f64 v[38:39], v[36:37], s[8:9], v[38:39]
	;; [unrolled: 1-line block ×5, first 2 shown]
	v_add_f64 v[105:106], v[121:122], v[123:124]
	v_fma_f64 v[78:79], v[91:92], s[0:1], v[78:79]
	v_add_f64 v[4:5], v[4:5], v[97:98]
	v_fma_f64 v[22:23], v[91:92], s[14:15], v[22:23]
	;; [unrolled: 2-line block ×3, first 2 shown]
	v_fma_f64 v[38:39], v[91:92], s[4:5], v[38:39]
	v_fma_f64 v[74:75], v[103:104], s[4:5], v[74:75]
	;; [unrolled: 1-line block ×4, first 2 shown]
	v_add_f64 v[4:5], v[4:5], v[42:43]
	v_fma_f64 v[34:35], v[95:96], s[6:7], v[34:35]
	v_fma_f64 v[22:23], v[8:9], s[6:7], v[22:23]
	;; [unrolled: 1-line block ×5, first 2 shown]
	v_mul_f64 v[42:43], v[93:94], s[4:5]
	v_fma_f64 v[10:11], v[10:11], s[6:7], v[74:75]
	v_fma_f64 v[36:37], v[105:106], s[6:7], v[36:37]
	v_add_f64 v[4:5], v[4:5], v[56:57]
	v_mul_f64 v[56:57], v[22:23], s[0:1]
	v_mul_f64 v[74:75], v[6:7], s[6:7]
	;; [unrolled: 1-line block ×4, first 2 shown]
	v_fma_f64 v[42:43], v[87:88], s[16:17], v[42:43]
	v_mul_f64 v[87:88], v[87:88], s[14:15]
	v_mul_f64 v[91:92], v[10:11], s[8:9]
	v_mul_f64 v[97:98], v[36:37], s[16:17]
	v_fma_f64 v[10:11], v[10:11], s[6:7], v[56:57]
	v_fma_f64 v[8:9], v[8:9], s[0:1], -v[74:75]
	v_fma_f64 v[36:37], v[36:37], s[4:5], -v[78:79]
	;; [unrolled: 1-line block ×3, first 2 shown]
	v_add_f64 v[38:39], v[20:21], v[30:31]
	v_fma_f64 v[74:75], v[93:94], s[16:17], v[87:88]
	v_fma_f64 v[22:23], v[22:23], s[6:7], v[91:92]
	v_add_f64 v[56:57], v[24:25], v[42:43]
	v_fma_f64 v[34:35], v[34:35], s[14:15], -v[97:98]
	v_add_f64 v[78:79], v[60:61], v[10:11]
	v_add_f64 v[87:88], v[2:3], v[8:9]
	;; [unrolled: 1-line block ×3, first 2 shown]
	v_add_f64 v[20:21], v[20:21], -v[30:31]
	v_add_f64 v[93:94], v[18:19], v[4:5]
	v_add_f64 v[24:25], v[24:25], -v[42:43]
	v_add_f64 v[10:11], v[60:61], -v[10:11]
	;; [unrolled: 1-line block ×5, first 2 shown]
	v_mov_b32_e32 v5, 3
	v_mul_u32_u24_e32 v4, 0x320, v14
	v_lshlrev_b32_sdwa v5, v5, v15 dst_sel:DWORD dst_unused:UNUSED_PAD src0_sel:DWORD src1_sel:BYTE_0
	v_add_f64 v[103:104], v[26:27], v[6:7]
	v_add_f64 v[123:124], v[26:27], -v[6:7]
	v_add3_u32 v6, 0, v4, v5
	v_add_f64 v[95:96], v[62:63], v[74:75]
	s_barrier
	ds_write2_b64 v6, v[44:45], v[72:73] offset1:10
	ds_write2_b64 v6, v[109:110], v[111:112] offset0:20 offset1:30
	ds_write2_b64 v6, v[99:100], v[40:41] offset0:40 offset1:50
	;; [unrolled: 1-line block ×4, first 2 shown]
	v_mul_u32_u24_e32 v0, 0x320, v16
	v_lshlrev_b32_e32 v1, 3, v17
	v_add_f64 v[97:98], v[54:55], v[22:23]
	v_add3_u32 v40, 0, v0, v1
	v_lshl_add_u32 v0, v82, 3, 0
	v_add_f64 v[105:106], v[28:29], v[34:35]
	ds_write2_b64 v40, v[38:39], v[56:57] offset1:10
	ds_write2_b64 v40, v[78:79], v[87:88] offset0:20 offset1:30
	ds_write2_b64 v40, v[91:92], v[20:21] offset0:40 offset1:50
	;; [unrolled: 1-line block ×4, first 2 shown]
	v_add_u32_e32 v52, 0x100, v0
	v_add_u32_e32 v7, 0x3000, v46
	v_add_u32_e32 v2, 0x4400, v46
	v_add_u32_e32 v5, 0x5000, v46
	v_add_u32_e32 v4, 0x3c00, v46
	v_add_u32_e32 v3, 0x2800, v46
	v_add_u32_e32 v1, 0x5800, v46
	s_movk_i32 s0, 0x64
	v_add_f64 v[74:75], v[62:63], -v[74:75]
	v_add_f64 v[121:122], v[54:55], -v[22:23]
	;; [unrolled: 1-line block ×3, first 2 shown]
	s_waitcnt lgkmcnt(0)
	s_barrier
	ds_read2_b64 v[8:11], v46 offset1:160
	ds_read2st64_b64 v[14:17], v52 offset0:7 offset1:12
	ds_read2_b64 v[18:21], v7 offset0:64 offset1:224
	ds_read2_b64 v[22:25], v2 offset0:64 offset1:224
	;; [unrolled: 1-line block ×3, first 2 shown]
	ds_read2_b64 v[30:33], v5 offset1:160
	ds_read2st64_b64 v[41:44], v46 offset0:5 offset1:10
	ds_read2_b64 v[53:56], v4 offset1:160
	ds_read2_b64 v[57:60], v3 offset1:160
	ds_read2_b64 v[61:64], v1 offset0:64 offset1:224
	s_waitcnt lgkmcnt(0)
	s_barrier
	ds_write2_b64 v6, v[101:102], v[113:114] offset1:10
	ds_write2_b64 v6, v[115:116], v[117:118] offset0:20 offset1:30
	ds_write2_b64 v6, v[119:120], v[68:69] offset0:40 offset1:50
	;; [unrolled: 1-line block ×4, first 2 shown]
	ds_write2_b64 v40, v[93:94], v[95:96] offset1:10
	ds_write2_b64 v40, v[97:98], v[103:104] offset0:20 offset1:30
	ds_write2_b64 v40, v[105:106], v[36:37] offset0:40 offset1:50
	;; [unrolled: 1-line block ×4, first 2 shown]
	v_add_u32_e32 v6, 0xffffff9c, v82
	v_cmp_gt_u32_e64 s[0:1], s0, v82
	v_cndmask_b32_e64 v45, v6, v82, s[0:1]
	v_mul_i32_i24_e32 v36, 3, v45
	v_mov_b32_e32 v37, 0
	v_lshlrev_b64 v[34:35], 4, v[36:37]
	v_mov_b32_e32 v6, s13
	v_add_co_u32_e64 v34, s[0:1], s12, v34
	v_addc_co_u32_e64 v35, s[0:1], v6, v35, s[0:1]
	s_waitcnt lgkmcnt(0)
	s_barrier
	global_load_dwordx4 v[65:68], v[34:35], off offset:1456
	v_lshrrev_b16_e32 v36, 2, v13
	v_mul_u32_u24_e32 v36, 0x147b, v36
	v_lshrrev_b32_e32 v36, 17, v36
	v_mul_lo_u16_e32 v38, 0x64, v36
	v_sub_u16_e32 v79, v13, v38
	v_mul_u32_u24_e32 v13, 3, v79
	v_lshlrev_b32_e32 v13, 4, v13
	global_load_dwordx4 v[69:72], v13, s[12:13] offset:1456
	global_load_dwordx4 v[73:76], v13, s[12:13] offset:1440
	v_add_u32_e32 v38, 0x140, v82
	v_lshrrev_b16_e32 v39, 2, v38
	v_mul_u32_u24_e32 v39, 0x147b, v39
	v_lshrrev_b32_e32 v83, 17, v39
	v_mul_lo_u16_e32 v39, 0x64, v83
	v_sub_u16_e32 v123, v38, v39
	v_mul_u32_u24_e32 v39, 3, v123
	v_lshlrev_b32_e32 v39, 4, v39
	global_load_dwordx4 v[87:90], v39, s[12:13] offset:1440
	global_load_dwordx4 v[91:94], v13, s[12:13] offset:1472
	;; [unrolled: 1-line block ×4, first 2 shown]
	v_add_u32_e32 v39, 0x1e0, v82
	v_lshrrev_b16_e32 v13, 2, v39
	v_mul_u32_u24_e32 v13, 0x147b, v13
	v_lshrrev_b32_e32 v124, 17, v13
	v_mul_lo_u16_e32 v13, 0x64, v124
	v_sub_u16_e32 v125, v39, v13
	v_mul_u32_u24_e32 v13, 3, v125
	v_lshlrev_b32_e32 v13, 4, v13
	global_load_dwordx4 v[103:106], v13, s[12:13] offset:1456
	global_load_dwordx4 v[115:118], v13, s[12:13] offset:1440
	ds_read2_b64 v[107:110], v7 offset0:64 offset1:224
	global_load_dwordx4 v[111:114], v[34:35], off offset:1440
	v_add_u32_e32 v40, 0x280, v82
	s_movk_i32 s0, 0x63
	v_cmp_lt_u32_e64 s[0:1], s0, v82
	s_movk_i32 s4, 0x1860
	s_movk_i32 s5, 0x3000
	s_waitcnt vmcnt(9) lgkmcnt(0)
	v_mul_f64 v[77:78], v[107:108], v[67:68]
	v_mul_f64 v[67:68], v[18:19], v[67:68]
	v_fma_f64 v[77:78], v[18:19], v[65:66], -v[77:78]
	s_waitcnt vmcnt(8)
	v_mul_f64 v[18:19], v[109:110], v[71:72]
	v_fma_f64 v[107:108], v[107:108], v[65:66], v[67:68]
	v_mul_f64 v[65:66], v[20:21], v[71:72]
	v_fma_f64 v[71:72], v[20:21], v[69:70], -v[18:19]
	ds_read2_b64 v[18:21], v12 offset0:64 offset1:224
	v_fma_f64 v[69:70], v[109:110], v[69:70], v[65:66]
	global_load_dwordx4 v[65:68], v[34:35], off offset:1472
	s_waitcnt vmcnt(8) lgkmcnt(0)
	v_mul_f64 v[34:35], v[18:19], v[75:76]
	v_mul_f64 v[75:76], v[26:27], v[75:76]
	s_waitcnt vmcnt(7)
	v_mul_f64 v[109:110], v[20:21], v[89:90]
	v_fma_f64 v[34:35], v[26:27], v[73:74], -v[34:35]
	v_fma_f64 v[73:74], v[18:19], v[73:74], v[75:76]
	v_mul_f64 v[18:19], v[28:29], v[89:90]
	v_fma_f64 v[75:76], v[28:29], v[87:88], -v[109:110]
	ds_read2_b64 v[26:29], v5 offset1:160
	s_waitcnt vmcnt(6) lgkmcnt(0)
	v_mul_f64 v[89:90], v[26:27], v[93:94]
	v_fma_f64 v[87:88], v[20:21], v[87:88], v[18:19]
	v_mul_f64 v[18:19], v[30:31], v[93:94]
	s_waitcnt vmcnt(5)
	v_mul_f64 v[20:21], v[28:29], v[97:98]
	v_fma_f64 v[89:90], v[30:31], v[91:92], -v[89:90]
	v_mul_f64 v[30:31], v[32:33], v[97:98]
	v_fma_f64 v[91:92], v[26:27], v[91:92], v[18:19]
	v_fma_f64 v[93:94], v[32:33], v[95:96], -v[20:21]
	ds_read2_b64 v[18:21], v4 offset1:160
	s_waitcnt vmcnt(4)
	v_mul_f64 v[32:33], v[53:54], v[101:102]
	v_lshrrev_b16_e32 v26, 2, v40
	v_mul_u32_u24_e32 v26, 0x147b, v26
	v_lshrrev_b32_e32 v126, 17, v26
	v_fma_f64 v[95:96], v[28:29], v[95:96], v[30:31]
	s_waitcnt lgkmcnt(0)
	v_mul_f64 v[30:31], v[18:19], v[101:102]
	global_load_dwordx4 v[26:29], v13, s[12:13] offset:1472
	v_mul_lo_u16_e32 v13, 0x64, v126
	v_sub_u16_e32 v127, v40, v13
	v_mul_u32_u24_e32 v13, 3, v127
	v_lshlrev_b32_e32 v13, 4, v13
	s_waitcnt vmcnt(4)
	v_mul_f64 v[97:98], v[20:21], v[105:106]
	v_add_f64 v[93:94], v[75:76], -v[93:94]
	v_fma_f64 v[101:102], v[53:54], v[99:100], -v[30:31]
	v_fma_f64 v[99:100], v[18:19], v[99:100], v[32:33]
	global_load_dwordx4 v[30:33], v13, s[12:13] offset:1440
	v_mul_f64 v[18:19], v[55:56], v[105:106]
	v_add_f64 v[95:96], v[87:88], -v[95:96]
	v_fma_f64 v[97:98], v[55:56], v[103:104], -v[97:98]
	s_waitcnt vmcnt(4)
	v_mul_f64 v[55:56], v[57:58], v[117:118]
	v_fma_f64 v[75:76], v[75:76], 2.0, -v[93:94]
	v_fma_f64 v[103:104], v[20:21], v[103:104], v[18:19]
	ds_read2_b64 v[18:21], v3 offset1:160
	v_fma_f64 v[87:88], v[87:88], 2.0, -v[95:96]
	v_add_f64 v[97:98], v[14:15], -v[97:98]
	s_waitcnt lgkmcnt(0)
	v_mul_f64 v[53:54], v[18:19], v[117:118]
	v_fma_f64 v[105:106], v[18:19], v[115:116], v[55:56]
	v_fma_f64 v[57:58], v[57:58], v[115:116], -v[53:54]
	global_load_dwordx4 v[53:56], v13, s[12:13] offset:1456
	s_waitcnt vmcnt(1)
	v_mul_f64 v[18:19], v[20:21], v[32:33]
	v_fma_f64 v[109:110], v[59:60], v[30:31], -v[18:19]
	v_mul_f64 v[18:19], v[59:60], v[32:33]
	v_mul_f64 v[32:33], v[24:25], v[67:68]
	v_fma_f64 v[59:60], v[20:21], v[30:31], v[18:19]
	ds_read2_b64 v[18:21], v2 offset0:64 offset1:224
	s_waitcnt lgkmcnt(0)
	v_mul_f64 v[30:31], v[20:21], v[67:68]
	s_waitcnt vmcnt(0)
	v_mul_f64 v[67:68], v[18:19], v[55:56]
	v_fma_f64 v[24:25], v[24:25], v[65:66], -v[30:31]
	v_mul_f64 v[30:31], v[22:23], v[55:56]
	v_fma_f64 v[65:66], v[20:21], v[65:66], v[32:33]
	v_fma_f64 v[55:56], v[22:23], v[53:54], -v[67:68]
	ds_read2st64_b64 v[20:23], v52 offset0:7 offset1:12
	s_waitcnt lgkmcnt(0)
	v_mul_f64 v[67:68], v[22:23], v[113:114]
	v_fma_f64 v[53:54], v[18:19], v[53:54], v[30:31]
	v_mul_f64 v[18:19], v[16:17], v[113:114]
	ds_read2_b64 v[30:33], v1 offset0:64 offset1:224
	v_add_f64 v[55:56], v[43:44], -v[55:56]
	v_fma_f64 v[67:68], v[16:17], v[111:112], -v[67:68]
	s_waitcnt lgkmcnt(0)
	v_mul_f64 v[16:17], v[30:31], v[28:29]
	v_fma_f64 v[22:23], v[22:23], v[111:112], v[18:19]
	v_mul_f64 v[18:19], v[61:62], v[28:29]
	v_fma_f64 v[43:44], v[43:44], 2.0, -v[55:56]
	v_add_f64 v[24:25], v[67:68], -v[24:25]
	v_fma_f64 v[28:29], v[61:62], v[26:27], -v[16:17]
	v_add_f64 v[65:66], v[22:23], -v[65:66]
	v_fma_f64 v[26:27], v[30:31], v[26:27], v[18:19]
	global_load_dwordx4 v[16:19], v13, s[12:13] offset:1472
	v_add_f64 v[61:62], v[8:9], -v[77:78]
	v_fma_f64 v[13:14], v[14:15], 2.0, -v[97:98]
	v_add_f64 v[28:29], v[57:58], -v[28:29]
	v_fma_f64 v[22:23], v[22:23], 2.0, -v[65:66]
	;; [unrolled: 2-line block ×3, first 2 shown]
	v_fma_f64 v[8:9], v[67:68], 2.0, -v[24:25]
	v_add_f64 v[67:68], v[10:11], -v[71:72]
	v_add_f64 v[65:66], v[61:62], -v[65:66]
	v_fma_f64 v[57:58], v[57:58], 2.0, -v[28:29]
	v_add_f64 v[71:72], v[77:78], -v[8:9]
	v_fma_f64 v[61:62], v[61:62], 2.0, -v[65:66]
	v_add_f64 v[57:58], v[13:14], -v[57:58]
	v_fma_f64 v[77:78], v[77:78], 2.0, -v[71:72]
	v_fma_f64 v[13:14], v[13:14], 2.0, -v[57:58]
	s_waitcnt vmcnt(0)
	v_mul_f64 v[30:31], v[32:33], v[18:19]
	v_mul_f64 v[18:19], v[63:64], v[18:19]
	v_fma_f64 v[30:31], v[63:64], v[16:17], -v[30:31]
	v_fma_f64 v[32:33], v[32:33], v[16:17], v[18:19]
	ds_read2_b64 v[16:19], v46 offset1:160
	s_waitcnt lgkmcnt(0)
	v_add_f64 v[63:64], v[16:17], -v[107:108]
	v_add_f64 v[30:31], v[109:110], -v[30:31]
	;; [unrolled: 1-line block ×3, first 2 shown]
	v_fma_f64 v[16:17], v[16:17], 2.0, -v[63:64]
	v_fma_f64 v[59:60], v[59:60], 2.0, -v[32:33]
	v_add_f64 v[32:33], v[55:56], -v[32:33]
	v_add_f64 v[107:108], v[16:17], -v[22:23]
	v_fma_f64 v[22:23], v[10:11], 2.0, -v[67:68]
	ds_read2st64_b64 v[8:11], v46 offset0:5 offset1:10
	s_waitcnt lgkmcnt(0)
	s_barrier
	v_add_f64 v[99:100], v[8:9], -v[99:100]
	v_fma_f64 v[111:112], v[16:17], 2.0, -v[107:108]
	v_add_f64 v[16:17], v[18:19], -v[69:70]
	v_add_f64 v[69:70], v[34:35], -v[89:90]
	;; [unrolled: 1-line block ×4, first 2 shown]
	v_add_f64 v[101:102], v[63:64], v[24:25]
	v_add_f64 v[53:54], v[10:11], -v[53:54]
	v_fma_f64 v[8:9], v[8:9], 2.0, -v[99:100]
	v_add_f64 v[93:94], v[99:100], v[93:94]
	v_fma_f64 v[18:19], v[18:19], 2.0, -v[16:17]
	v_fma_f64 v[34:35], v[34:35], 2.0, -v[69:70]
	;; [unrolled: 1-line block ×4, first 2 shown]
	v_add_f64 v[69:70], v[16:17], v[69:70]
	v_fma_f64 v[10:11], v[10:11], 2.0, -v[53:54]
	v_add_f64 v[87:88], v[8:9], -v[87:88]
	v_fma_f64 v[99:100], v[99:100], 2.0, -v[93:94]
	v_add_f64 v[24:25], v[22:23], -v[34:35]
	v_add_f64 v[34:35], v[18:19], -v[73:74]
	v_add_f64 v[73:74], v[67:68], -v[89:90]
	v_add_f64 v[75:76], v[41:42], -v[75:76]
	v_fma_f64 v[89:90], v[63:64], 2.0, -v[101:102]
	v_fma_f64 v[63:64], v[105:106], 2.0, -v[26:27]
	;; [unrolled: 1-line block ×3, first 2 shown]
	v_add_f64 v[8:9], v[91:92], -v[95:96]
	v_fma_f64 v[95:96], v[109:110], 2.0, -v[30:31]
	v_fma_f64 v[113:114], v[18:19], 2.0, -v[34:35]
	;; [unrolled: 1-line block ×5, first 2 shown]
	v_add_f64 v[41:42], v[20:21], -v[103:104]
	v_add_f64 v[26:27], v[97:98], -v[26:27]
	v_fma_f64 v[22:23], v[22:23], 2.0, -v[24:25]
	v_mov_b32_e32 v17, 0xc80
	v_cndmask_b32_e64 v17, 0, v17, s[0:1]
	v_fma_f64 v[91:92], v[91:92], 2.0, -v[8:9]
	v_add_f64 v[109:110], v[53:54], v[30:31]
	v_fma_f64 v[20:21], v[20:21], 2.0, -v[41:42]
	v_add_f64 v[105:106], v[41:42], v[28:29]
	v_add_f64 v[28:29], v[43:44], -v[95:96]
	v_add_f64 v[95:96], v[10:11], -v[59:60]
	v_fma_f64 v[121:122], v[53:54], 2.0, -v[109:110]
	v_add_f64 v[103:104], v[20:21], -v[63:64]
	v_fma_f64 v[30:31], v[43:44], 2.0, -v[28:29]
	v_fma_f64 v[119:120], v[10:11], 2.0, -v[95:96]
	v_fma_f64 v[10:11], v[55:56], 2.0, -v[32:33]
	v_fma_f64 v[117:118], v[20:21], 2.0, -v[103:104]
	v_fma_f64 v[20:21], v[97:98], 2.0, -v[26:27]
	v_fma_f64 v[97:98], v[41:42], 2.0, -v[105:106]
	v_lshlrev_b32_e32 v41, 3, v45
	v_add3_u32 v45, 0, v17, v41
	v_mul_u32_u24_e32 v17, 0xc80, v36
	v_lshlrev_b32_e32 v36, 3, v79
	ds_write2_b64 v45, v[77:78], v[61:62] offset1:100
	v_add_u32_e32 v77, 0x400, v45
	v_add3_u32 v36, 0, v17, v36
	ds_write2_b64 v77, v[71:72], v[65:66] offset0:72 offset1:172
	ds_write2_b64 v36, v[22:23], v[18:19] offset1:100
	v_mul_u32_u24_e32 v17, 0xc80, v83
	v_lshlrev_b32_e32 v18, 3, v123
	v_add3_u32 v66, 0, v17, v18
	v_add_u32_e32 v65, 0x400, v36
	v_add_u32_e32 v71, 0x400, v66
	ds_write2_b64 v65, v[24:25], v[73:74] offset0:72 offset1:172
	ds_write2_b64 v71, v[75:76], v[8:9] offset0:72 offset1:172
	v_mul_u32_u24_e32 v8, 0xc80, v124
	v_lshlrev_b32_e32 v9, 3, v125
	v_add3_u32 v72, 0, v8, v9
	v_mul_u32_u24_e32 v8, 0xc80, v126
	v_lshlrev_b32_e32 v9, 3, v127
	v_add3_u32 v74, 0, v8, v9
	v_add_u32_e32 v73, 0x400, v72
	v_add_u32_e32 v75, 0x400, v74
	ds_write2_b64 v66, v[15:16], v[91:92] offset1:100
	ds_write2_b64 v72, v[13:14], v[20:21] offset1:100
	ds_write2_b64 v73, v[57:58], v[26:27] offset0:72 offset1:172
	ds_write2_b64 v75, v[28:29], v[32:33] offset0:72 offset1:172
	v_mul_u32_u24_e32 v33, 3, v82
	ds_write2_b64 v74, v[30:31], v[10:11] offset1:100
	s_waitcnt lgkmcnt(0)
	s_barrier
	ds_read2_b64 v[8:11], v46 offset1:160
	ds_read2st64_b64 v[13:16], v52 offset0:7 offset1:12
	ds_read2_b64 v[17:20], v7 offset0:64 offset1:224
	ds_read2_b64 v[21:24], v2 offset0:64 offset1:224
	;; [unrolled: 1-line block ×3, first 2 shown]
	ds_read2_b64 v[29:32], v5 offset1:160
	ds_read2st64_b64 v[41:44], v46 offset0:5 offset1:10
	ds_read2_b64 v[53:56], v4 offset1:160
	ds_read2_b64 v[57:60], v3 offset1:160
	ds_read2_b64 v[61:64], v1 offset0:64 offset1:224
	s_waitcnt lgkmcnt(0)
	s_barrier
	ds_write2_b64 v45, v[111:112], v[89:90] offset1:100
	ds_write2_b64 v77, v[107:108], v[101:102] offset0:72 offset1:172
	ds_write2_b64 v36, v[113:114], v[67:68] offset1:100
	ds_write2_b64 v65, v[34:35], v[69:70] offset0:72 offset1:172
	;; [unrolled: 2-line block ×5, first 2 shown]
	v_lshlrev_b32_e32 v45, 4, v33
	v_add_co_u32_e64 v79, s[0:1], s12, v45
	v_addc_co_u32_e64 v83, s[0:1], 0, v6, s[0:1]
	v_add_co_u32_e64 v77, s[0:1], s4, v79
	v_addc_co_u32_e64 v78, s[0:1], 0, v83, s[0:1]
	s_waitcnt lgkmcnt(0)
	s_barrier
	global_load_dwordx4 v[65:68], v[77:78], off offset:16
	v_add_co_u32_e64 v33, s[0:1], s5, v79
	v_addc_co_u32_e64 v34, s[0:1], 0, v83, s[0:1]
	global_load_dwordx4 v[69:72], v[33:34], off offset:1632
	s_movk_i32 s0, 0x3660
	v_add_co_u32_e64 v91, s[0:1], s0, v79
	v_addc_co_u32_e64 v92, s[0:1], 0, v83, s[0:1]
	global_load_dwordx4 v[73:76], v[91:92], off offset:16
	s_movk_i32 s0, 0x50
	v_add_u32_e32 v33, 0xffffffb0, v82
	v_cmp_gt_u32_e64 s[0:1], s0, v82
	v_cndmask_b32_e64 v127, v33, v38, s[0:1]
	v_mul_i32_i24_e32 v36, 3, v127
	v_lshlrev_b64 v[33:34], 4, v[36:37]
	s_movk_i32 s5, 0x1000
	v_add_co_u32_e64 v95, s[0:1], s12, v33
	v_addc_co_u32_e64 v96, s[0:1], v6, v34, s[0:1]
	v_add_co_u32_e64 v93, s[0:1], s5, v95
	v_addc_co_u32_e64 v94, s[0:1], 0, v96, s[0:1]
	global_load_dwordx4 v[33:36], v[93:94], off offset:2144
	global_load_dwordx4 v[87:90], v[91:92], off offset:32
	v_add_co_u32_e64 v107, s[0:1], s4, v95
	v_addc_co_u32_e64 v108, s[0:1], 0, v96, s[0:1]
	global_load_dwordx4 v[91:94], v[107:108], off offset:32
	ds_read2_b64 v[95:98], v7 offset0:64 offset1:224
	ds_read2_b64 v[99:102], v12 offset0:64 offset1:224
	global_load_dwordx4 v[103:106], v[77:78], off offset:32
	v_add_co_u32_e64 v111, s[0:1], s5, v79
	global_load_dwordx4 v[107:110], v[107:108], off offset:16
	v_addc_co_u32_e64 v112, s[0:1], 0, v83, s[0:1]
	v_add_u32_e32 v7, 0xf00, v45
	v_add_co_u32_e64 v7, s[0:1], s12, v7
	v_addc_co_u32_e64 v12, s[0:1], 0, v6, s[0:1]
	v_add_co_u32_e64 v115, s[0:1], s4, v7
	v_addc_co_u32_e64 v116, s[0:1], 0, v12, s[0:1]
	s_waitcnt vmcnt(7) lgkmcnt(1)
	v_mul_f64 v[77:78], v[95:96], v[67:68]
	v_mul_f64 v[67:68], v[17:18], v[67:68]
	s_waitcnt vmcnt(6) lgkmcnt(0)
	v_mul_f64 v[113:114], v[99:100], v[71:72]
	v_mul_f64 v[71:72], v[25:26], v[71:72]
	v_fma_f64 v[77:78], v[17:18], v[65:66], -v[77:78]
	v_fma_f64 v[117:118], v[95:96], v[65:66], v[67:68]
	global_load_dwordx4 v[65:68], v[115:116], off offset:16
	s_waitcnt vmcnt(6)
	v_mul_f64 v[17:18], v[97:98], v[75:76]
	v_fma_f64 v[113:114], v[25:26], v[69:70], -v[113:114]
	v_fma_f64 v[99:100], v[99:100], v[69:70], v[71:72]
	global_load_dwordx4 v[69:72], v[111:112], off offset:2144
	v_mul_f64 v[25:26], v[19:20], v[75:76]
	v_fma_f64 v[111:112], v[19:20], v[73:74], -v[17:18]
	v_add_co_u32_e64 v17, s[0:1], s5, v7
	v_addc_co_u32_e64 v18, s[0:1], 0, v12, s[0:1]
	global_load_dwordx4 v[17:20], v[17:18], off offset:2144
	v_add_u32_e32 v7, 0x2d00, v45
	v_add_co_u32_e64 v12, s[0:1], s12, v7
	v_addc_co_u32_e64 v45, s[0:1], 0, v6, s[0:1]
	v_add_co_u32_e64 v6, s[0:1], s5, v12
	v_addc_co_u32_e64 v7, s[0:1], 0, v45, s[0:1]
	v_fma_f64 v[119:120], v[97:98], v[73:74], v[25:26]
	global_load_dwordx4 v[73:76], v[6:7], off offset:2144
	s_waitcnt vmcnt(8)
	v_mul_f64 v[25:26], v[101:102], v[35:36]
	v_mul_f64 v[35:36], v[27:28], v[35:36]
	v_add_co_u32_e64 v6, s[0:1], s4, v12
	v_addc_co_u32_e64 v7, s[0:1], 0, v45, s[0:1]
	global_load_dwordx4 v[95:98], v[115:116], off offset:32
	s_movk_i32 s0, 0x4f
	v_fma_f64 v[121:122], v[27:28], v[33:34], -v[25:26]
	global_load_dwordx4 v[25:28], v[6:7], off offset:16
	v_fma_f64 v[101:102], v[101:102], v[33:34], v[35:36]
	ds_read2_b64 v[33:36], v5 offset1:160
	v_cmp_lt_u32_e64 s[0:1], s0, v82
	s_movk_i32 s4, 0xc80
	s_waitcnt vmcnt(9) lgkmcnt(0)
	v_mul_f64 v[123:124], v[33:34], v[89:90]
	v_mul_f64 v[89:90], v[29:30], v[89:90]
	v_fma_f64 v[115:116], v[29:30], v[87:88], -v[123:124]
	v_fma_f64 v[123:124], v[33:34], v[87:88], v[89:90]
	global_load_dwordx4 v[87:90], v[6:7], off offset:32
	s_waitcnt vmcnt(9)
	v_mul_f64 v[5:6], v[35:36], v[93:94]
	v_mul_f64 v[29:30], v[31:32], v[93:94]
	v_fma_f64 v[125:126], v[31:32], v[91:92], -v[5:6]
	ds_read2_b64 v[4:7], v4 offset1:160
	v_fma_f64 v[91:92], v[35:36], v[91:92], v[29:30]
	s_waitcnt vmcnt(7)
	v_mul_f64 v[31:32], v[53:54], v[109:110]
	s_waitcnt lgkmcnt(0)
	v_mul_f64 v[29:30], v[4:5], v[109:110]
	v_add_f64 v[91:92], v[101:102], -v[91:92]
	v_fma_f64 v[93:94], v[4:5], v[107:108], v[31:32]
	v_fma_f64 v[53:54], v[53:54], v[107:108], -v[29:30]
	ds_read2st64_b64 v[29:32], v52 offset0:7 offset1:12
	s_waitcnt vmcnt(6)
	v_mul_f64 v[33:34], v[6:7], v[67:68]
	v_mul_f64 v[67:68], v[55:56], v[67:68]
	v_add_f64 v[53:54], v[41:42], -v[53:54]
	s_waitcnt vmcnt(5) lgkmcnt(0)
	v_mul_f64 v[4:5], v[31:32], v[71:72]
	v_fma_f64 v[55:56], v[55:56], v[65:66], -v[33:34]
	ds_read2_b64 v[33:36], v2 offset0:64 offset1:224
	v_fma_f64 v[65:66], v[6:7], v[65:66], v[67:68]
	v_mul_f64 v[6:7], v[15:16], v[71:72]
	v_mul_f64 v[71:72], v[23:24], v[105:106]
	v_fma_f64 v[41:42], v[41:42], 2.0, -v[53:54]
	s_waitcnt lgkmcnt(0)
	v_mul_f64 v[67:68], v[35:36], v[105:106]
	v_fma_f64 v[105:106], v[15:16], v[69:70], -v[4:5]
	ds_read2_b64 v[2:5], v3 offset1:160
	v_fma_f64 v[6:7], v[31:32], v[69:70], v[6:7]
	v_fma_f64 v[31:32], v[35:36], v[103:104], v[71:72]
	s_waitcnt vmcnt(4) lgkmcnt(0)
	v_mul_f64 v[15:16], v[2:3], v[19:20]
	v_mul_f64 v[19:20], v[57:58], v[19:20]
	v_fma_f64 v[23:24], v[23:24], v[103:104], -v[67:68]
	v_add_f64 v[67:68], v[8:9], -v[77:78]
	s_waitcnt vmcnt(3)
	v_mul_f64 v[35:36], v[4:5], v[75:76]
	v_add_f64 v[31:32], v[6:7], -v[31:32]
	v_fma_f64 v[57:58], v[57:58], v[17:18], -v[15:16]
	v_fma_f64 v[19:20], v[2:3], v[17:18], v[19:20]
	ds_read2_b64 v[15:18], v46 offset1:160
	v_mul_f64 v[2:3], v[59:60], v[75:76]
	v_fma_f64 v[35:36], v[59:60], v[73:74], -v[35:36]
	v_add_f64 v[23:24], v[105:106], -v[23:24]
	s_waitcnt vmcnt(1)
	v_mul_f64 v[59:60], v[33:34], v[27:28]
	s_waitcnt lgkmcnt(0)
	v_add_f64 v[69:70], v[15:16], -v[117:118]
	v_mul_f64 v[27:28], v[21:22], v[27:28]
	v_fma_f64 v[71:72], v[4:5], v[73:74], v[2:3]
	v_fma_f64 v[5:6], v[6:7], 2.0, -v[31:32]
	ds_read2_b64 v[1:4], v1 offset0:64 offset1:224
	v_fma_f64 v[21:22], v[21:22], v[25:26], -v[59:60]
	v_fma_f64 v[59:60], v[8:9], 2.0, -v[67:68]
	v_fma_f64 v[15:16], v[15:16], 2.0, -v[69:70]
	;; [unrolled: 1-line block ×3, first 2 shown]
	v_fma_f64 v[25:26], v[33:34], v[25:26], v[27:28]
	v_mul_f64 v[27:28], v[61:62], v[97:98]
	s_waitcnt lgkmcnt(0)
	v_mul_f64 v[73:74], v[1:2], v[97:98]
	v_add_f64 v[31:32], v[67:68], -v[31:32]
	v_add_f64 v[21:22], v[43:44], -v[21:22]
	s_waitcnt vmcnt(0)
	v_mul_f64 v[33:34], v[3:4], v[89:90]
	v_mul_f64 v[75:76], v[63:64], v[89:90]
	v_add_f64 v[77:78], v[59:60], -v[8:9]
	v_add_f64 v[89:90], v[15:16], -v[5:6]
	ds_read2st64_b64 v[5:8], v46 offset0:5 offset1:10
	v_fma_f64 v[1:2], v[1:2], v[95:96], v[27:28]
	v_fma_f64 v[61:62], v[61:62], v[95:96], -v[73:74]
	v_add_f64 v[73:74], v[113:114], -v[115:116]
	v_fma_f64 v[27:28], v[63:64], v[87:88], -v[33:34]
	v_fma_f64 v[3:4], v[3:4], v[87:88], v[75:76]
	v_fma_f64 v[33:34], v[59:60], 2.0, -v[77:78]
	v_fma_f64 v[59:60], v[15:16], 2.0, -v[89:90]
	v_add_f64 v[15:16], v[10:11], -v[111:112]
	v_add_f64 v[63:64], v[17:18], -v[119:120]
	;; [unrolled: 1-line block ×3, first 2 shown]
	s_waitcnt lgkmcnt(0)
	v_add_f64 v[87:88], v[5:6], -v[93:94]
	v_add_f64 v[93:94], v[121:122], -v[125:126]
	;; [unrolled: 1-line block ×5, first 2 shown]
	v_fma_f64 v[9:10], v[10:11], 2.0, -v[15:16]
	v_fma_f64 v[11:12], v[17:18], 2.0, -v[63:64]
	;; [unrolled: 1-line block ×6, first 2 shown]
	v_add_f64 v[101:102], v[69:70], v[23:24]
	v_add_f64 v[23:24], v[15:16], -v[75:76]
	v_add_f64 v[27:28], v[35:36], -v[27:28]
	;; [unrolled: 1-line block ×4, first 2 shown]
	v_fma_f64 v[17:18], v[113:114], 2.0, -v[73:74]
	v_add_f64 v[75:76], v[41:42], -v[97:98]
	v_add_f64 v[97:98], v[5:6], -v[99:100]
	v_fma_f64 v[57:58], v[57:58], 2.0, -v[61:62]
	v_fma_f64 v[19:20], v[19:20], 2.0, -v[1:2]
	;; [unrolled: 1-line block ×7, first 2 shown]
	v_add_f64 v[41:42], v[13:14], -v[55:56]
	v_add_f64 v[55:56], v[29:30], -v[65:66]
	v_fma_f64 v[103:104], v[5:6], 2.0, -v[97:98]
	v_add_f64 v[5:6], v[53:54], -v[91:92]
	v_add_f64 v[91:92], v[87:88], v[93:94]
	v_fma_f64 v[35:36], v[35:36], 2.0, -v[27:28]
	v_fma_f64 v[65:66], v[71:72], 2.0, -v[3:4]
	v_add_f64 v[17:18], v[9:10], -v[17:18]
	v_fma_f64 v[13:14], v[13:14], 2.0, -v[41:42]
	v_fma_f64 v[29:30], v[29:30], 2.0, -v[55:56]
	v_add_f64 v[1:2], v[41:42], -v[1:2]
	v_add_f64 v[3:4], v[21:22], -v[3:4]
	v_fma_f64 v[71:72], v[87:88], 2.0, -v[91:92]
	v_fma_f64 v[67:68], v[67:68], 2.0, -v[31:32]
	v_add_f64 v[65:66], v[7:8], -v[65:66]
	v_fma_f64 v[9:10], v[9:10], 2.0, -v[17:18]
	v_add_f64 v[57:58], v[13:14], -v[57:58]
	v_add_f64 v[87:88], v[29:30], -v[19:20]
	;; [unrolled: 1-line block ×3, first 2 shown]
	v_fma_f64 v[53:54], v[53:54], 2.0, -v[5:6]
	v_add_f64 v[93:94], v[25:26], v[27:28]
	v_fma_f64 v[27:28], v[41:42], 2.0, -v[1:2]
	v_fma_f64 v[107:108], v[7:8], 2.0, -v[65:66]
	;; [unrolled: 1-line block ×6, first 2 shown]
	s_barrier
	ds_write2_b64 v46, v[33:34], v[9:10] offset1:160
	v_mov_b32_e32 v9, 0x3200
	v_add_u32_e32 v36, 0xc00, v46
	v_cndmask_b32_e64 v9, 0, v9, s[0:1]
	v_lshlrev_b32_e32 v10, 3, v127
	ds_write2_b64 v36, v[67:68], v[11:12] offset0:16 offset1:176
	v_add_u32_e32 v41, 0x1800, v46
	v_add_u32_e32 v67, 0x2400, v46
	v_add3_u32 v68, 0, v9, v10
	ds_write2_b64 v41, v[77:78], v[17:18] offset0:32 offset1:192
	ds_write2_b64 v67, v[31:32], v[23:24] offset0:48 offset1:208
	ds_write_b64 v68, v[15:16]
	ds_write_b64 v68, v[53:54] offset:3200
	ds_write_b64 v68, v[75:76] offset:6400
	;; [unrolled: 1-line block ×3, first 2 shown]
	v_add_u32_e32 v75, 0x4c00, v0
	v_add_f64 v[73:74], v[63:64], v[73:74]
	v_add_u32_e32 v53, 0x3400, v0
	v_add_u32_e32 v54, 0x4000, v0
	ds_write2_b64 v75, v[57:58], v[19:20] offset0:48 offset1:208
	v_add_u32_e32 v57, 0x5800, v0
	v_fma_f64 v[109:110], v[25:26], 2.0, -v[93:94]
	ds_write2_b64 v53, v[13:14], v[29:30] offset0:16 offset1:176
	ds_write2_b64 v54, v[27:28], v[7:8] offset0:32 offset1:192
	;; [unrolled: 1-line block ×3, first 2 shown]
	s_waitcnt lgkmcnt(0)
	s_barrier
	ds_read2_b64 v[0:3], v46 offset1:160
	ds_read2st64_b64 v[12:15], v46 offset0:15 offset1:25
	ds_read2_b64 v[16:19], v47 offset0:32 offset1:192
	ds_read2st64_b64 v[4:7], v46 offset0:5 offset1:10
	ds_read2st64_b64 v[8:11], v52 offset0:7 offset1:12
	ds_read2_b64 v[20:23], v48 offset0:32 offset1:192
	ds_read2_b64 v[28:31], v49 offset0:32 offset1:192
	ds_read2st64_b64 v[24:27], v52 offset0:17 offset1:22
	ds_read2_b64 v[32:35], v51 offset0:32 offset1:192
	ds_read_b64 v[42:43], v50
	ds_read_b64 v[44:45], v46 offset:24320
	v_add_f64 v[61:62], v[55:56], v[61:62]
	v_fma_f64 v[69:70], v[69:70], 2.0, -v[101:102]
	v_fma_f64 v[63:64], v[63:64], 2.0, -v[73:74]
	s_waitcnt lgkmcnt(0)
	s_barrier
	v_fma_f64 v[55:56], v[55:56], 2.0, -v[61:62]
	ds_write2_b64 v46, v[59:60], v[99:100] offset1:160
	ds_write2_b64 v36, v[69:70], v[63:64] offset0:16 offset1:176
	ds_write2_b64 v41, v[89:90], v[95:96] offset0:32 offset1:192
	;; [unrolled: 1-line block ×3, first 2 shown]
	ds_write_b64 v68, v[103:104]
	ds_write_b64 v68, v[71:72] offset:3200
	ds_write_b64 v68, v[97:98] offset:6400
	;; [unrolled: 1-line block ×3, first 2 shown]
	ds_write2_b64 v53, v[105:106], v[107:108] offset0:16 offset1:176
	ds_write2_b64 v54, v[55:56], v[109:110] offset0:32 offset1:192
	;; [unrolled: 1-line block ×4, first 2 shown]
	s_waitcnt lgkmcnt(0)
	s_barrier
	s_and_saveexec_b64 s[0:1], vcc
	s_cbranch_execz .LBB0_15
; %bb.14:
	v_add_u32_e32 v36, 0x5a0, v82
	v_lshlrev_b64 v[53:54], 4, v[36:37]
	v_mov_b32_e32 v36, s13
	v_add_co_u32_e32 v41, vcc, s12, v53
	v_addc_co_u32_e32 v53, vcc, v36, v54, vcc
	s_movk_i32 s0, 0x6000
	v_add_co_u32_e32 v62, vcc, s0, v41
	v_mov_b32_e32 v87, v37
	v_addc_co_u32_e32 v63, vcc, 0, v53, vcc
	v_lshlrev_b64 v[53:54], 4, v[86:87]
	v_add_u32_e32 v61, 0x460, v82
	v_add_co_u32_e32 v41, vcc, s12, v53
	v_addc_co_u32_e32 v53, vcc, v36, v54, vcc
	v_add_co_u32_e32 v66, vcc, s0, v41
	v_addc_co_u32_e32 v67, vcc, 0, v53, vcc
	global_load_dwordx4 v[53:56], v[62:63], off offset:864
	global_load_dwordx4 v[57:60], v[66:67], off offset:864
	v_mov_b32_e32 v62, v37
	v_lshlrev_b64 v[61:62], 4, v[61:62]
	v_add_u32_e32 v65, 0x3c0, v82
	v_add_co_u32_e32 v41, vcc, s12, v61
	v_addc_co_u32_e32 v62, vcc, v36, v62, vcc
	v_add_co_u32_e32 v61, vcc, s0, v41
	v_addc_co_u32_e32 v62, vcc, 0, v62, vcc
	global_load_dwordx4 v[61:64], v[61:62], off offset:864
	v_mov_b32_e32 v66, v37
	v_lshlrev_b64 v[65:66], 4, v[65:66]
	v_add_u32_e32 v69, 0x320, v82
	v_add_co_u32_e32 v41, vcc, s12, v65
	v_addc_co_u32_e32 v66, vcc, v36, v66, vcc
	v_mov_b32_e32 v70, v37
	v_add_co_u32_e32 v65, vcc, s0, v41
	v_lshlrev_b64 v[69:70], 4, v[69:70]
	v_addc_co_u32_e32 v66, vcc, 0, v66, vcc
	global_load_dwordx4 v[65:68], v[65:66], off offset:864
	v_add_co_u32_e32 v41, vcc, s12, v69
	v_addc_co_u32_e32 v69, vcc, v36, v70, vcc
	v_add_co_u32_e32 v77, vcc, s0, v41
	v_mov_b32_e32 v41, v37
	v_lshlrev_b64 v[40:41], 4, v[40:41]
	v_addc_co_u32_e32 v78, vcc, 0, v69, vcc
	v_add_co_u32_e32 v40, vcc, s12, v40
	v_addc_co_u32_e32 v41, vcc, v36, v41, vcc
	v_add_co_u32_e32 v40, vcc, s0, v40
	v_addc_co_u32_e32 v41, vcc, 0, v41, vcc
	global_load_dwordx4 v[69:72], v[77:78], off offset:864
	global_load_dwordx4 v[73:76], v[40:41], off offset:864
	v_mov_b32_e32 v40, v37
	v_lshlrev_b64 v[39:40], 4, v[39:40]
	v_mov_b32_e32 v83, v37
	v_add_co_u32_e32 v39, vcc, s12, v39
	v_addc_co_u32_e32 v40, vcc, v36, v40, vcc
	v_add_co_u32_e32 v39, vcc, s0, v39
	v_addc_co_u32_e32 v40, vcc, 0, v40, vcc
	global_load_dwordx4 v[86:89], v[39:40], off offset:864
	v_mov_b32_e32 v39, v37
	v_lshlrev_b64 v[38:39], 4, v[38:39]
	v_lshlrev_b64 v[77:78], 4, v[82:83]
	v_add_co_u32_e32 v38, vcc, s12, v38
	v_addc_co_u32_e32 v39, vcc, v36, v39, vcc
	v_add_co_u32_e32 v38, vcc, s0, v38
	v_addc_co_u32_e32 v39, vcc, 0, v39, vcc
	;; [unrolled: 2-line block ×4, first 2 shown]
	global_load_dwordx4 v[38:41], v[38:39], off offset:864
	s_nop 0
	global_load_dwordx4 v[90:93], v[77:78], off offset:3424
	global_load_dwordx4 v[94:97], v[77:78], off offset:864
	ds_read_b64 v[77:78], v46 offset:24320
	ds_read2_b64 v[98:101], v51 offset0:32 offset1:192
	ds_read_b64 v[50:51], v50
	v_mul_lo_u32 v36, s3, v84
	v_mul_lo_u32 v79, s2, v85
	s_waitcnt vmcnt(9) lgkmcnt(2)
	v_mul_f64 v[104:105], v[53:54], v[77:78]
	s_waitcnt vmcnt(8) lgkmcnt(1)
	v_mul_f64 v[106:107], v[57:58], v[100:101]
	v_mul_f64 v[77:78], v[55:56], v[77:78]
	;; [unrolled: 1-line block ×3, first 2 shown]
	ds_read2st64_b64 v[100:103], v52 offset0:17 offset1:22
	s_mov_b32 s1, 0x51eb851f
	v_fma_f64 v[55:56], v[44:45], v[55:56], v[104:105]
	v_fma_f64 v[59:60], v[34:35], v[59:60], v[106:107]
	s_waitcnt vmcnt(7)
	v_mul_f64 v[110:111], v[61:62], v[98:99]
	v_fma_f64 v[44:45], v[44:45], v[53:54], -v[77:78]
	v_fma_f64 v[34:35], v[34:35], v[57:58], -v[108:109]
	v_mad_u64_u32 v[77:78], s[2:3], s2, v84, 0
	ds_read2_b64 v[104:107], v49 offset0:32 offset1:192
	s_waitcnt lgkmcnt(1)
	v_add_f64 v[55:56], v[102:103], -v[55:56]
	v_add_f64 v[59:60], v[50:51], -v[59:60]
	v_fma_f64 v[83:84], v[32:33], v[63:64], v[110:111]
	v_add_f64 v[53:54], v[26:27], -v[44:45]
	v_add_f64 v[57:58], v[42:43], -v[34:35]
	v_mul_f64 v[63:64], v[63:64], v[98:99]
	v_add3_u32 v78, v78, v79, v36
	v_fma_f64 v[110:111], v[102:103], 2.0, -v[55:56]
	v_fma_f64 v[44:45], v[50:51], 2.0, -v[59:60]
	v_add_f64 v[34:35], v[100:101], -v[83:84]
	s_waitcnt vmcnt(6) lgkmcnt(0)
	v_mul_f64 v[83:84], v[65:66], v[106:107]
	ds_read2_b64 v[48:51], v48 offset0:32 offset1:192
	v_fma_f64 v[108:109], v[26:27], 2.0, -v[53:54]
	v_mul_f64 v[98:99], v[67:68], v[106:107]
	v_fma_f64 v[32:33], v[32:33], v[61:62], -v[63:64]
	ds_read2st64_b64 v[61:64], v46 offset0:15 offset1:25
	v_fma_f64 v[42:43], v[42:43], 2.0, -v[57:58]
	v_fma_f64 v[26:27], v[100:101], 2.0, -v[34:35]
	v_fma_f64 v[67:68], v[30:31], v[67:68], v[83:84]
	v_fma_f64 v[30:31], v[30:31], v[65:66], -v[98:99]
	v_add_f64 v[32:33], v[24:25], -v[32:33]
	s_waitcnt vmcnt(5)
	v_mul_f64 v[100:101], v[69:70], v[104:105]
	v_mul_f64 v[83:84], v[71:72], v[104:105]
	s_waitcnt vmcnt(4) lgkmcnt(1)
	v_mul_f64 v[102:103], v[73:74], v[50:51]
	v_mul_f64 v[50:51], v[75:76], v[50:51]
	s_waitcnt lgkmcnt(0)
	v_add_f64 v[67:68], v[61:62], -v[67:68]
	v_add_f64 v[65:66], v[12:13], -v[30:31]
	v_fma_f64 v[24:25], v[24:25], 2.0, -v[32:33]
	v_fma_f64 v[71:72], v[28:29], v[71:72], v[100:101]
	ds_read2st64_b64 v[98:101], v52 offset0:7 offset1:12
	v_fma_f64 v[28:29], v[28:29], v[69:70], -v[83:84]
	v_fma_f64 v[83:84], v[22:23], v[75:76], v[102:103]
	v_fma_f64 v[22:23], v[22:23], v[73:74], -v[50:51]
	s_waitcnt vmcnt(3)
	v_mul_f64 v[51:52], v[86:87], v[48:49]
	v_fma_f64 v[75:76], v[61:62], 2.0, -v[67:68]
	v_fma_f64 v[73:74], v[12:13], 2.0, -v[65:66]
	s_waitcnt lgkmcnt(0)
	v_add_f64 v[30:31], v[100:101], -v[71:72]
	ds_read2st64_b64 v[69:72], v46 offset0:5 offset1:10
	v_add_f64 v[28:29], v[10:11], -v[28:29]
	v_add_f64 v[102:103], v[6:7], -v[22:23]
	v_mul_f64 v[22:23], v[88:89], v[48:49]
	v_fma_f64 v[51:52], v[20:21], v[88:89], v[51:52]
	ds_read2_b64 v[47:50], v47 offset0:32 offset1:192
	s_waitcnt lgkmcnt(1)
	v_add_f64 v[104:105], v[71:72], -v[83:84]
	v_fma_f64 v[12:13], v[100:101], 2.0, -v[30:31]
	v_fma_f64 v[10:11], v[10:11], 2.0, -v[28:29]
	;; [unrolled: 1-line block ×3, first 2 shown]
	v_fma_f64 v[22:23], v[20:21], v[86:87], -v[22:23]
	v_add_f64 v[20:21], v[98:99], -v[51:52]
	v_fma_f64 v[114:115], v[71:72], 2.0, -v[104:105]
	s_waitcnt vmcnt(2) lgkmcnt(0)
	v_mul_f64 v[6:7], v[38:39], v[49:50]
	v_mul_f64 v[49:50], v[40:41], v[49:50]
	s_waitcnt vmcnt(1)
	v_mul_f64 v[61:62], v[90:91], v[47:48]
	s_waitcnt vmcnt(0)
	v_mul_f64 v[51:52], v[94:95], v[63:64]
	v_mul_f64 v[63:64], v[96:97], v[63:64]
	;; [unrolled: 1-line block ×3, first 2 shown]
	v_fma_f64 v[6:7], v[18:19], v[40:41], v[6:7]
	v_fma_f64 v[49:50], v[18:19], v[38:39], -v[49:50]
	v_fma_f64 v[61:62], v[16:17], v[92:93], v[61:62]
	v_add_f64 v[18:19], v[8:9], -v[22:23]
	v_fma_f64 v[51:52], v[14:15], v[96:97], v[51:52]
	v_fma_f64 v[71:72], v[14:15], v[94:95], -v[63:64]
	ds_read2_b64 v[38:41], v46 offset1:160
	v_fma_f64 v[22:23], v[16:17], v[90:91], -v[47:48]
	v_add_f64 v[16:17], v[69:70], -v[6:7]
	v_add_f64 v[14:15], v[4:5], -v[49:50]
	v_fma_f64 v[63:64], v[98:99], 2.0, -v[20:21]
	s_waitcnt lgkmcnt(0)
	v_add_f64 v[48:49], v[40:41], -v[61:62]
	v_fma_f64 v[61:62], v[8:9], 2.0, -v[18:19]
	v_add_f64 v[8:9], v[38:39], -v[51:52]
	v_add_f64 v[6:7], v[0:1], -v[71:72]
	;; [unrolled: 1-line block ×3, first 2 shown]
	v_mul_hi_u32 v22, v82, s1
	v_fma_f64 v[71:72], v[69:70], 2.0, -v[16:17]
	v_fma_f64 v[69:70], v[4:5], 2.0, -v[14:15]
	;; [unrolled: 1-line block ×3, first 2 shown]
	v_mov_b32_e32 v23, s11
	v_fma_f64 v[40:41], v[38:39], 2.0, -v[8:9]
	v_fma_f64 v[38:39], v[0:1], 2.0, -v[6:7]
	v_lshrrev_b32_e32 v0, 9, v22
	v_mul_u32_u24_e32 v0, 0x640, v0
	v_sub_u32_e32 v22, v82, v0
	v_lshlrev_b64 v[0:1], 4, v[77:78]
	v_fma_f64 v[2:3], v[2:3], 2.0, -v[46:47]
	v_add_co_u32_e32 v36, vcc, s10, v0
	v_addc_co_u32_e32 v23, vcc, v23, v1, vcc
	v_lshlrev_b64 v[0:1], 4, v[80:81]
	v_add_co_u32_e32 v50, vcc, v36, v0
	v_addc_co_u32_e32 v23, vcc, v23, v1, vcc
	v_lshlrev_b32_e32 v0, 4, v22
	v_add_u32_e32 v22, 0xa0, v82
	v_add_co_u32_e32 v0, vcc, v50, v0
	v_mul_hi_u32 v36, v22, s1
	v_addc_co_u32_e32 v1, vcc, 0, v23, vcc
	global_store_dwordx4 v[0:1], v[38:41], off
	v_add_co_u32_e32 v0, vcc, s0, v0
	v_addc_co_u32_e32 v1, vcc, 0, v1, vcc
	global_store_dwordx4 v[0:1], v[6:9], off offset:1024
	v_lshrrev_b32_e32 v0, 9, v36
	v_mul_u32_u24_e32 v1, 0x640, v0
	v_sub_u32_e32 v1, v22, v1
	v_mad_u32_u24 v36, v0, s4, v1
	v_lshlrev_b64 v[0:1], 4, v[36:37]
	v_add_u32_e32 v36, 0x640, v36
	v_add_co_u32_e32 v0, vcc, v50, v0
	v_addc_co_u32_e32 v1, vcc, v23, v1, vcc
	global_store_dwordx4 v[0:1], v[2:5], off
	v_lshlrev_b64 v[0:1], 4, v[36:37]
	v_add_u32_e32 v2, 0x140, v82
	v_mul_hi_u32 v3, v2, s1
	v_add_co_u32_e32 v0, vcc, v50, v0
	v_addc_co_u32_e32 v1, vcc, v23, v1, vcc
	global_store_dwordx4 v[0:1], v[46:49], off
	v_lshrrev_b32_e32 v0, 9, v3
	v_mul_u32_u24_e32 v1, 0x640, v0
	v_sub_u32_e32 v1, v2, v1
	v_mad_u32_u24 v36, v0, s4, v1
	v_lshlrev_b64 v[0:1], 4, v[36:37]
	v_add_u32_e32 v36, 0x640, v36
	v_add_co_u32_e32 v0, vcc, v50, v0
	v_addc_co_u32_e32 v1, vcc, v23, v1, vcc
	v_add_u32_e32 v2, 0x1e0, v82
	global_store_dwordx4 v[0:1], v[69:72], off
	v_lshlrev_b64 v[0:1], 4, v[36:37]
	v_mul_hi_u32 v3, v2, s1
	v_add_co_u32_e32 v0, vcc, v50, v0
	v_addc_co_u32_e32 v1, vcc, v23, v1, vcc
	global_store_dwordx4 v[0:1], v[14:17], off
	v_lshrrev_b32_e32 v0, 9, v3
	v_mul_u32_u24_e32 v1, 0x640, v0
	v_sub_u32_e32 v1, v2, v1
	v_mad_u32_u24 v36, v0, s4, v1
	v_lshlrev_b64 v[0:1], 4, v[36:37]
	v_add_u32_e32 v36, 0x640, v36
	v_add_co_u32_e32 v0, vcc, v50, v0
	v_addc_co_u32_e32 v1, vcc, v23, v1, vcc
	v_add_u32_e32 v2, 0x280, v82
	global_store_dwordx4 v[0:1], v[61:64], off
	v_lshlrev_b64 v[0:1], 4, v[36:37]
	;; [unrolled: 15-line block ×7, first 2 shown]
	v_mul_hi_u32 v3, v2, s1
	v_add_co_u32_e32 v0, vcc, v50, v0
	v_addc_co_u32_e32 v1, vcc, v23, v1, vcc
	global_store_dwordx4 v[0:1], v[57:60], off
	v_lshrrev_b32_e32 v0, 9, v3
	v_mul_u32_u24_e32 v1, 0x640, v0
	v_sub_u32_e32 v1, v2, v1
	v_mad_u32_u24 v36, v0, s4, v1
	v_lshlrev_b64 v[0:1], 4, v[36:37]
	v_add_u32_e32 v36, 0x640, v36
	v_add_co_u32_e32 v0, vcc, v50, v0
	v_addc_co_u32_e32 v1, vcc, v23, v1, vcc
	global_store_dwordx4 v[0:1], v[108:111], off
	v_lshlrev_b64 v[0:1], 4, v[36:37]
	v_add_co_u32_e32 v0, vcc, v50, v0
	v_addc_co_u32_e32 v1, vcc, v23, v1, vcc
	global_store_dwordx4 v[0:1], v[53:56], off
.LBB0_15:
	s_endpgm
	.section	.rodata,"a",@progbits
	.p2align	6, 0x0
	.amdhsa_kernel fft_rtc_fwd_len3200_factors_10_10_4_4_2_wgs_160_tpt_160_halfLds_dp_op_CI_CI_unitstride_sbrr_dirReg
		.amdhsa_group_segment_fixed_size 0
		.amdhsa_private_segment_fixed_size 0
		.amdhsa_kernarg_size 104
		.amdhsa_user_sgpr_count 6
		.amdhsa_user_sgpr_private_segment_buffer 1
		.amdhsa_user_sgpr_dispatch_ptr 0
		.amdhsa_user_sgpr_queue_ptr 0
		.amdhsa_user_sgpr_kernarg_segment_ptr 1
		.amdhsa_user_sgpr_dispatch_id 0
		.amdhsa_user_sgpr_flat_scratch_init 0
		.amdhsa_user_sgpr_private_segment_size 0
		.amdhsa_uses_dynamic_stack 0
		.amdhsa_system_sgpr_private_segment_wavefront_offset 0
		.amdhsa_system_sgpr_workgroup_id_x 1
		.amdhsa_system_sgpr_workgroup_id_y 0
		.amdhsa_system_sgpr_workgroup_id_z 0
		.amdhsa_system_sgpr_workgroup_info 0
		.amdhsa_system_vgpr_workitem_id 0
		.amdhsa_next_free_vgpr 129
		.amdhsa_next_free_sgpr 28
		.amdhsa_reserve_vcc 1
		.amdhsa_reserve_flat_scratch 0
		.amdhsa_float_round_mode_32 0
		.amdhsa_float_round_mode_16_64 0
		.amdhsa_float_denorm_mode_32 3
		.amdhsa_float_denorm_mode_16_64 3
		.amdhsa_dx10_clamp 1
		.amdhsa_ieee_mode 1
		.amdhsa_fp16_overflow 0
		.amdhsa_exception_fp_ieee_invalid_op 0
		.amdhsa_exception_fp_denorm_src 0
		.amdhsa_exception_fp_ieee_div_zero 0
		.amdhsa_exception_fp_ieee_overflow 0
		.amdhsa_exception_fp_ieee_underflow 0
		.amdhsa_exception_fp_ieee_inexact 0
		.amdhsa_exception_int_div_zero 0
	.end_amdhsa_kernel
	.text
.Lfunc_end0:
	.size	fft_rtc_fwd_len3200_factors_10_10_4_4_2_wgs_160_tpt_160_halfLds_dp_op_CI_CI_unitstride_sbrr_dirReg, .Lfunc_end0-fft_rtc_fwd_len3200_factors_10_10_4_4_2_wgs_160_tpt_160_halfLds_dp_op_CI_CI_unitstride_sbrr_dirReg
                                        ; -- End function
	.section	.AMDGPU.csdata,"",@progbits
; Kernel info:
; codeLenInByte = 14676
; NumSgprs: 32
; NumVgprs: 129
; ScratchSize: 0
; MemoryBound: 1
; FloatMode: 240
; IeeeMode: 1
; LDSByteSize: 0 bytes/workgroup (compile time only)
; SGPRBlocks: 3
; VGPRBlocks: 32
; NumSGPRsForWavesPerEU: 32
; NumVGPRsForWavesPerEU: 129
; Occupancy: 1
; WaveLimiterHint : 1
; COMPUTE_PGM_RSRC2:SCRATCH_EN: 0
; COMPUTE_PGM_RSRC2:USER_SGPR: 6
; COMPUTE_PGM_RSRC2:TRAP_HANDLER: 0
; COMPUTE_PGM_RSRC2:TGID_X_EN: 1
; COMPUTE_PGM_RSRC2:TGID_Y_EN: 0
; COMPUTE_PGM_RSRC2:TGID_Z_EN: 0
; COMPUTE_PGM_RSRC2:TIDIG_COMP_CNT: 0
	.type	__hip_cuid_f3d8ac324a528ba4,@object ; @__hip_cuid_f3d8ac324a528ba4
	.section	.bss,"aw",@nobits
	.globl	__hip_cuid_f3d8ac324a528ba4
__hip_cuid_f3d8ac324a528ba4:
	.byte	0                               ; 0x0
	.size	__hip_cuid_f3d8ac324a528ba4, 1

	.ident	"AMD clang version 19.0.0git (https://github.com/RadeonOpenCompute/llvm-project roc-6.4.0 25133 c7fe45cf4b819c5991fe208aaa96edf142730f1d)"
	.section	".note.GNU-stack","",@progbits
	.addrsig
	.addrsig_sym __hip_cuid_f3d8ac324a528ba4
	.amdgpu_metadata
---
amdhsa.kernels:
  - .args:
      - .actual_access:  read_only
        .address_space:  global
        .offset:         0
        .size:           8
        .value_kind:     global_buffer
      - .offset:         8
        .size:           8
        .value_kind:     by_value
      - .actual_access:  read_only
        .address_space:  global
        .offset:         16
        .size:           8
        .value_kind:     global_buffer
      - .actual_access:  read_only
        .address_space:  global
        .offset:         24
        .size:           8
        .value_kind:     global_buffer
      - .actual_access:  read_only
        .address_space:  global
        .offset:         32
        .size:           8
        .value_kind:     global_buffer
      - .offset:         40
        .size:           8
        .value_kind:     by_value
      - .actual_access:  read_only
        .address_space:  global
        .offset:         48
        .size:           8
        .value_kind:     global_buffer
      - .actual_access:  read_only
        .address_space:  global
        .offset:         56
        .size:           8
        .value_kind:     global_buffer
      - .offset:         64
        .size:           4
        .value_kind:     by_value
      - .actual_access:  read_only
        .address_space:  global
        .offset:         72
        .size:           8
        .value_kind:     global_buffer
      - .actual_access:  read_only
        .address_space:  global
        .offset:         80
        .size:           8
        .value_kind:     global_buffer
      - .actual_access:  read_only
        .address_space:  global
        .offset:         88
        .size:           8
        .value_kind:     global_buffer
      - .actual_access:  write_only
        .address_space:  global
        .offset:         96
        .size:           8
        .value_kind:     global_buffer
    .group_segment_fixed_size: 0
    .kernarg_segment_align: 8
    .kernarg_segment_size: 104
    .language:       OpenCL C
    .language_version:
      - 2
      - 0
    .max_flat_workgroup_size: 160
    .name:           fft_rtc_fwd_len3200_factors_10_10_4_4_2_wgs_160_tpt_160_halfLds_dp_op_CI_CI_unitstride_sbrr_dirReg
    .private_segment_fixed_size: 0
    .sgpr_count:     32
    .sgpr_spill_count: 0
    .symbol:         fft_rtc_fwd_len3200_factors_10_10_4_4_2_wgs_160_tpt_160_halfLds_dp_op_CI_CI_unitstride_sbrr_dirReg.kd
    .uniform_work_group_size: 1
    .uses_dynamic_stack: false
    .vgpr_count:     129
    .vgpr_spill_count: 0
    .wavefront_size: 64
amdhsa.target:   amdgcn-amd-amdhsa--gfx906
amdhsa.version:
  - 1
  - 2
...

	.end_amdgpu_metadata
